;; amdgpu-corpus repo=ROCm/rocThrust kind=compiled arch=gfx906 opt=O3
	.amdgcn_target "amdgcn-amd-amdhsa--gfx906"
	.amdhsa_code_object_version 6
	.section	.text._ZN6thrust23THRUST_200600_302600_NS11hip_rocprim14__parallel_for6kernelILj256ENS1_20__uninitialized_fill7functorINS0_10device_ptrIiEEiEEmLj1EEEvT0_T1_SA_,"axG",@progbits,_ZN6thrust23THRUST_200600_302600_NS11hip_rocprim14__parallel_for6kernelILj256ENS1_20__uninitialized_fill7functorINS0_10device_ptrIiEEiEEmLj1EEEvT0_T1_SA_,comdat
	.protected	_ZN6thrust23THRUST_200600_302600_NS11hip_rocprim14__parallel_for6kernelILj256ENS1_20__uninitialized_fill7functorINS0_10device_ptrIiEEiEEmLj1EEEvT0_T1_SA_ ; -- Begin function _ZN6thrust23THRUST_200600_302600_NS11hip_rocprim14__parallel_for6kernelILj256ENS1_20__uninitialized_fill7functorINS0_10device_ptrIiEEiEEmLj1EEEvT0_T1_SA_
	.globl	_ZN6thrust23THRUST_200600_302600_NS11hip_rocprim14__parallel_for6kernelILj256ENS1_20__uninitialized_fill7functorINS0_10device_ptrIiEEiEEmLj1EEEvT0_T1_SA_
	.p2align	8
	.type	_ZN6thrust23THRUST_200600_302600_NS11hip_rocprim14__parallel_for6kernelILj256ENS1_20__uninitialized_fill7functorINS0_10device_ptrIiEEiEEmLj1EEEvT0_T1_SA_,@function
_ZN6thrust23THRUST_200600_302600_NS11hip_rocprim14__parallel_for6kernelILj256ENS1_20__uninitialized_fill7functorINS0_10device_ptrIiEEiEEmLj1EEEvT0_T1_SA_: ; @_ZN6thrust23THRUST_200600_302600_NS11hip_rocprim14__parallel_for6kernelILj256ENS1_20__uninitialized_fill7functorINS0_10device_ptrIiEEiEEmLj1EEEvT0_T1_SA_
; %bb.0:
	s_load_dwordx4 s[12:15], s[4:5], 0x10
	s_load_dwordx2 s[0:1], s[4:5], 0x0
	s_load_dword s8, s[4:5], 0x8
	s_lshl_b32 s2, s6, 8
	v_mov_b32_e32 v1, 0xff
	s_waitcnt lgkmcnt(0)
	s_add_u32 s2, s14, s2
	s_addc_u32 s3, s15, 0
	s_sub_u32 s4, s12, s2
	v_mov_b32_e32 v2, 0
	s_subb_u32 s5, s13, s3
	v_cmp_gt_u64_e32 vcc, s[4:5], v[1:2]
	s_mov_b64 s[6:7], -1
	s_cbranch_vccz .LBB0_3
; %bb.1:
	s_andn2_b64 vcc, exec, s[6:7]
	s_cbranch_vccz .LBB0_6
.LBB0_2:
	s_endpgm
.LBB0_3:
	v_cmp_gt_u32_e32 vcc, s4, v0
	s_and_saveexec_b64 s[4:5], vcc
	s_cbranch_execz .LBB0_5
; %bb.4:
	s_lshl_b64 s[6:7], s[2:3], 2
	s_add_u32 s6, s0, s6
	s_addc_u32 s7, s1, s7
	v_lshlrev_b32_e32 v1, 2, v0
	v_mov_b32_e32 v2, s7
	v_add_co_u32_e32 v1, vcc, s6, v1
	v_addc_co_u32_e32 v2, vcc, 0, v2, vcc
	v_mov_b32_e32 v3, s8
	flat_store_dword v[1:2], v3
.LBB0_5:
	s_or_b64 exec, exec, s[4:5]
	s_cbranch_execnz .LBB0_2
.LBB0_6:
	s_lshl_b64 s[2:3], s[2:3], 2
	s_add_u32 s0, s0, s2
	s_addc_u32 s1, s1, s3
	v_lshlrev_b32_e32 v0, 2, v0
	v_mov_b32_e32 v1, s1
	v_add_co_u32_e32 v0, vcc, s0, v0
	v_addc_co_u32_e32 v1, vcc, 0, v1, vcc
	v_mov_b32_e32 v2, s8
	flat_store_dword v[0:1], v2
	s_endpgm
	.section	.rodata,"a",@progbits
	.p2align	6, 0x0
	.amdhsa_kernel _ZN6thrust23THRUST_200600_302600_NS11hip_rocprim14__parallel_for6kernelILj256ENS1_20__uninitialized_fill7functorINS0_10device_ptrIiEEiEEmLj1EEEvT0_T1_SA_
		.amdhsa_group_segment_fixed_size 0
		.amdhsa_private_segment_fixed_size 0
		.amdhsa_kernarg_size 32
		.amdhsa_user_sgpr_count 6
		.amdhsa_user_sgpr_private_segment_buffer 1
		.amdhsa_user_sgpr_dispatch_ptr 0
		.amdhsa_user_sgpr_queue_ptr 0
		.amdhsa_user_sgpr_kernarg_segment_ptr 1
		.amdhsa_user_sgpr_dispatch_id 0
		.amdhsa_user_sgpr_flat_scratch_init 0
		.amdhsa_user_sgpr_private_segment_size 0
		.amdhsa_uses_dynamic_stack 0
		.amdhsa_system_sgpr_private_segment_wavefront_offset 0
		.amdhsa_system_sgpr_workgroup_id_x 1
		.amdhsa_system_sgpr_workgroup_id_y 0
		.amdhsa_system_sgpr_workgroup_id_z 0
		.amdhsa_system_sgpr_workgroup_info 0
		.amdhsa_system_vgpr_workitem_id 0
		.amdhsa_next_free_vgpr 4
		.amdhsa_next_free_sgpr 16
		.amdhsa_reserve_vcc 1
		.amdhsa_reserve_flat_scratch 0
		.amdhsa_float_round_mode_32 0
		.amdhsa_float_round_mode_16_64 0
		.amdhsa_float_denorm_mode_32 3
		.amdhsa_float_denorm_mode_16_64 3
		.amdhsa_dx10_clamp 1
		.amdhsa_ieee_mode 1
		.amdhsa_fp16_overflow 0
		.amdhsa_exception_fp_ieee_invalid_op 0
		.amdhsa_exception_fp_denorm_src 0
		.amdhsa_exception_fp_ieee_div_zero 0
		.amdhsa_exception_fp_ieee_overflow 0
		.amdhsa_exception_fp_ieee_underflow 0
		.amdhsa_exception_fp_ieee_inexact 0
		.amdhsa_exception_int_div_zero 0
	.end_amdhsa_kernel
	.section	.text._ZN6thrust23THRUST_200600_302600_NS11hip_rocprim14__parallel_for6kernelILj256ENS1_20__uninitialized_fill7functorINS0_10device_ptrIiEEiEEmLj1EEEvT0_T1_SA_,"axG",@progbits,_ZN6thrust23THRUST_200600_302600_NS11hip_rocprim14__parallel_for6kernelILj256ENS1_20__uninitialized_fill7functorINS0_10device_ptrIiEEiEEmLj1EEEvT0_T1_SA_,comdat
.Lfunc_end0:
	.size	_ZN6thrust23THRUST_200600_302600_NS11hip_rocprim14__parallel_for6kernelILj256ENS1_20__uninitialized_fill7functorINS0_10device_ptrIiEEiEEmLj1EEEvT0_T1_SA_, .Lfunc_end0-_ZN6thrust23THRUST_200600_302600_NS11hip_rocprim14__parallel_for6kernelILj256ENS1_20__uninitialized_fill7functorINS0_10device_ptrIiEEiEEmLj1EEEvT0_T1_SA_
                                        ; -- End function
	.set _ZN6thrust23THRUST_200600_302600_NS11hip_rocprim14__parallel_for6kernelILj256ENS1_20__uninitialized_fill7functorINS0_10device_ptrIiEEiEEmLj1EEEvT0_T1_SA_.num_vgpr, 4
	.set _ZN6thrust23THRUST_200600_302600_NS11hip_rocprim14__parallel_for6kernelILj256ENS1_20__uninitialized_fill7functorINS0_10device_ptrIiEEiEEmLj1EEEvT0_T1_SA_.num_agpr, 0
	.set _ZN6thrust23THRUST_200600_302600_NS11hip_rocprim14__parallel_for6kernelILj256ENS1_20__uninitialized_fill7functorINS0_10device_ptrIiEEiEEmLj1EEEvT0_T1_SA_.numbered_sgpr, 16
	.set _ZN6thrust23THRUST_200600_302600_NS11hip_rocprim14__parallel_for6kernelILj256ENS1_20__uninitialized_fill7functorINS0_10device_ptrIiEEiEEmLj1EEEvT0_T1_SA_.num_named_barrier, 0
	.set _ZN6thrust23THRUST_200600_302600_NS11hip_rocprim14__parallel_for6kernelILj256ENS1_20__uninitialized_fill7functorINS0_10device_ptrIiEEiEEmLj1EEEvT0_T1_SA_.private_seg_size, 0
	.set _ZN6thrust23THRUST_200600_302600_NS11hip_rocprim14__parallel_for6kernelILj256ENS1_20__uninitialized_fill7functorINS0_10device_ptrIiEEiEEmLj1EEEvT0_T1_SA_.uses_vcc, 1
	.set _ZN6thrust23THRUST_200600_302600_NS11hip_rocprim14__parallel_for6kernelILj256ENS1_20__uninitialized_fill7functorINS0_10device_ptrIiEEiEEmLj1EEEvT0_T1_SA_.uses_flat_scratch, 0
	.set _ZN6thrust23THRUST_200600_302600_NS11hip_rocprim14__parallel_for6kernelILj256ENS1_20__uninitialized_fill7functorINS0_10device_ptrIiEEiEEmLj1EEEvT0_T1_SA_.has_dyn_sized_stack, 0
	.set _ZN6thrust23THRUST_200600_302600_NS11hip_rocprim14__parallel_for6kernelILj256ENS1_20__uninitialized_fill7functorINS0_10device_ptrIiEEiEEmLj1EEEvT0_T1_SA_.has_recursion, 0
	.set _ZN6thrust23THRUST_200600_302600_NS11hip_rocprim14__parallel_for6kernelILj256ENS1_20__uninitialized_fill7functorINS0_10device_ptrIiEEiEEmLj1EEEvT0_T1_SA_.has_indirect_call, 0
	.section	.AMDGPU.csdata,"",@progbits
; Kernel info:
; codeLenInByte = 188
; TotalNumSgprs: 20
; NumVgprs: 4
; ScratchSize: 0
; MemoryBound: 0
; FloatMode: 240
; IeeeMode: 1
; LDSByteSize: 0 bytes/workgroup (compile time only)
; SGPRBlocks: 2
; VGPRBlocks: 0
; NumSGPRsForWavesPerEU: 20
; NumVGPRsForWavesPerEU: 4
; Occupancy: 10
; WaveLimiterHint : 0
; COMPUTE_PGM_RSRC2:SCRATCH_EN: 0
; COMPUTE_PGM_RSRC2:USER_SGPR: 6
; COMPUTE_PGM_RSRC2:TRAP_HANDLER: 0
; COMPUTE_PGM_RSRC2:TGID_X_EN: 1
; COMPUTE_PGM_RSRC2:TGID_Y_EN: 0
; COMPUTE_PGM_RSRC2:TGID_Z_EN: 0
; COMPUTE_PGM_RSRC2:TIDIG_COMP_CNT: 0
	.section	.text._ZN7rocprim17ROCPRIM_400000_NS6detail30init_device_scan_by_key_kernelINS1_19lookback_scan_stateINS0_5tupleIJibEEELb0ELb1EEEN6thrust23THRUST_200600_302600_NS18transform_iteratorI9row_indexNS8_17counting_iteratorImNS8_11use_defaultESC_SC_EESC_SC_EEjNS1_16block_id_wrapperIjLb0EEEEEvT_jjPNSH_10value_typeET0_PNSt15iterator_traitsISK_E10value_typeEmT1_T2_,"axG",@progbits,_ZN7rocprim17ROCPRIM_400000_NS6detail30init_device_scan_by_key_kernelINS1_19lookback_scan_stateINS0_5tupleIJibEEELb0ELb1EEEN6thrust23THRUST_200600_302600_NS18transform_iteratorI9row_indexNS8_17counting_iteratorImNS8_11use_defaultESC_SC_EESC_SC_EEjNS1_16block_id_wrapperIjLb0EEEEEvT_jjPNSH_10value_typeET0_PNSt15iterator_traitsISK_E10value_typeEmT1_T2_,comdat
	.protected	_ZN7rocprim17ROCPRIM_400000_NS6detail30init_device_scan_by_key_kernelINS1_19lookback_scan_stateINS0_5tupleIJibEEELb0ELb1EEEN6thrust23THRUST_200600_302600_NS18transform_iteratorI9row_indexNS8_17counting_iteratorImNS8_11use_defaultESC_SC_EESC_SC_EEjNS1_16block_id_wrapperIjLb0EEEEEvT_jjPNSH_10value_typeET0_PNSt15iterator_traitsISK_E10value_typeEmT1_T2_ ; -- Begin function _ZN7rocprim17ROCPRIM_400000_NS6detail30init_device_scan_by_key_kernelINS1_19lookback_scan_stateINS0_5tupleIJibEEELb0ELb1EEEN6thrust23THRUST_200600_302600_NS18transform_iteratorI9row_indexNS8_17counting_iteratorImNS8_11use_defaultESC_SC_EESC_SC_EEjNS1_16block_id_wrapperIjLb0EEEEEvT_jjPNSH_10value_typeET0_PNSt15iterator_traitsISK_E10value_typeEmT1_T2_
	.globl	_ZN7rocprim17ROCPRIM_400000_NS6detail30init_device_scan_by_key_kernelINS1_19lookback_scan_stateINS0_5tupleIJibEEELb0ELb1EEEN6thrust23THRUST_200600_302600_NS18transform_iteratorI9row_indexNS8_17counting_iteratorImNS8_11use_defaultESC_SC_EESC_SC_EEjNS1_16block_id_wrapperIjLb0EEEEEvT_jjPNSH_10value_typeET0_PNSt15iterator_traitsISK_E10value_typeEmT1_T2_
	.p2align	8
	.type	_ZN7rocprim17ROCPRIM_400000_NS6detail30init_device_scan_by_key_kernelINS1_19lookback_scan_stateINS0_5tupleIJibEEELb0ELb1EEEN6thrust23THRUST_200600_302600_NS18transform_iteratorI9row_indexNS8_17counting_iteratorImNS8_11use_defaultESC_SC_EESC_SC_EEjNS1_16block_id_wrapperIjLb0EEEEEvT_jjPNSH_10value_typeET0_PNSt15iterator_traitsISK_E10value_typeEmT1_T2_,@function
_ZN7rocprim17ROCPRIM_400000_NS6detail30init_device_scan_by_key_kernelINS1_19lookback_scan_stateINS0_5tupleIJibEEELb0ELb1EEEN6thrust23THRUST_200600_302600_NS18transform_iteratorI9row_indexNS8_17counting_iteratorImNS8_11use_defaultESC_SC_EESC_SC_EEjNS1_16block_id_wrapperIjLb0EEEEEvT_jjPNSH_10value_typeET0_PNSt15iterator_traitsISK_E10value_typeEmT1_T2_: ; @_ZN7rocprim17ROCPRIM_400000_NS6detail30init_device_scan_by_key_kernelINS1_19lookback_scan_stateINS0_5tupleIJibEEELb0ELb1EEEN6thrust23THRUST_200600_302600_NS18transform_iteratorI9row_indexNS8_17counting_iteratorImNS8_11use_defaultESC_SC_EESC_SC_EEjNS1_16block_id_wrapperIjLb0EEEEEvT_jjPNSH_10value_typeET0_PNSt15iterator_traitsISK_E10value_typeEmT1_T2_
; %bb.0:
	s_load_dword s0, s[4:5], 0x4c
	s_load_dwordx8 s[8:15], s[4:5], 0x0
	s_load_dword s18, s[4:5], 0x40
	s_waitcnt lgkmcnt(0)
	s_and_b32 s19, s0, 0xffff
	s_mul_i32 s6, s6, s19
	s_cmp_eq_u64 s[12:13], 0
	v_add_u32_e32 v4, s6, v0
	s_cbranch_scc1 .LBB1_8
; %bb.1:
	s_cmp_lt_u32 s11, s10
	s_cselect_b32 s0, s11, 0
	s_mov_b32 s3, 0
	v_cmp_eq_u32_e32 vcc, s0, v4
	s_and_saveexec_b64 s[0:1], vcc
	s_cbranch_execz .LBB1_7
; %bb.2:
	s_add_i32 s2, s11, 64
	s_lshl_b64 s[2:3], s[2:3], 4
	s_add_u32 s16, s8, s2
	s_addc_u32 s17, s9, s3
	v_mov_b32_e32 v0, s16
	v_mov_b32_e32 v1, s17
	;;#ASMSTART
	global_load_dwordx4 v[0:3], v[0:1] off glc	
s_waitcnt vmcnt(0)
	;;#ASMEND
	v_and_b32_e32 v5, 0xff, v2
	v_mov_b32_e32 v6, 0
	v_cmp_eq_u64_e32 vcc, 0, v[5:6]
	s_mov_b64 s[6:7], 0
	s_and_saveexec_b64 s[2:3], vcc
	s_cbranch_execz .LBB1_6
; %bb.3:
	v_mov_b32_e32 v7, s16
	v_mov_b32_e32 v8, s17
.LBB1_4:                                ; =>This Inner Loop Header: Depth=1
	;;#ASMSTART
	global_load_dwordx4 v[0:3], v[7:8] off glc	
s_waitcnt vmcnt(0)
	;;#ASMEND
	v_and_b32_e32 v5, 0xff, v2
	v_cmp_ne_u64_e32 vcc, 0, v[5:6]
	s_or_b64 s[6:7], vcc, s[6:7]
	s_andn2_b64 exec, exec, s[6:7]
	s_cbranch_execnz .LBB1_4
; %bb.5:
	s_or_b64 exec, exec, s[6:7]
.LBB1_6:
	s_or_b64 exec, exec, s[2:3]
	v_mov_b32_e32 v2, 0
	global_store_dword v2, v0, s[12:13]
	global_store_byte v2, v1, s[12:13] offset:4
.LBB1_7:
	s_or_b64 exec, exec, s[0:1]
.LBB1_8:
	v_cmp_gt_u32_e32 vcc, s10, v4
	s_and_saveexec_b64 s[0:1], vcc
	s_cbranch_execz .LBB1_10
; %bb.9:
	v_add_u32_e32 v0, 64, v4
	v_mov_b32_e32 v1, 0
	v_lshlrev_b64 v[2:3], 4, v[0:1]
	v_mov_b32_e32 v0, s9
	v_add_co_u32_e32 v5, vcc, s8, v2
	v_addc_co_u32_e32 v6, vcc, v0, v3, vcc
	v_mov_b32_e32 v0, v1
	v_mov_b32_e32 v2, v1
	;; [unrolled: 1-line block ×3, first 2 shown]
	global_store_dwordx4 v[5:6], v[0:3], off
.LBB1_10:
	s_or_b64 exec, exec, s[0:1]
	v_cmp_gt_u32_e32 vcc, 64, v4
	v_mov_b32_e32 v5, 0
	s_and_saveexec_b64 s[0:1], vcc
	s_cbranch_execz .LBB1_12
; %bb.11:
	v_lshlrev_b64 v[0:1], 4, v[4:5]
	v_mov_b32_e32 v2, s9
	v_add_co_u32_e32 v6, vcc, s8, v0
	v_addc_co_u32_e32 v7, vcc, v2, v1, vcc
	v_mov_b32_e32 v2, 0xff
	v_mov_b32_e32 v0, v5
	;; [unrolled: 1-line block ×4, first 2 shown]
	global_store_dwordx4 v[6:7], v[0:3], off
.LBB1_12:
	s_or_b64 exec, exec, s[0:1]
	s_load_dwordx2 s[2:3], s[4:5], 0x30
	s_waitcnt lgkmcnt(0)
	v_cmp_gt_u64_e32 vcc, s[2:3], v[4:5]
	s_and_saveexec_b64 s[0:1], vcc
	s_cbranch_execz .LBB1_19
; %bb.13:
	s_load_dword s6, s[4:5], 0x38
	s_load_dwordx4 s[8:11], s[4:5], 0x20
	v_lshlrev_b64 v[2:3], 3, v[4:5]
	s_mul_i32 s4, s18, s19
	s_mov_b32 s5, 0
	s_waitcnt lgkmcnt(0)
	s_add_i32 s0, s6, -1
	v_cvt_f32_u32_e32 v6, s8
	v_cvt_f32_u32_e32 v7, s9
	s_add_u32 s0, s0, s14
	s_addc_u32 s1, 0, s15
	v_mov_b32_e32 v0, s0
	v_madmk_f32 v6, v7, 0x4f800000, v6
	v_rcp_f32_e32 v6, v6
	v_mov_b32_e32 v1, s1
	v_mad_u64_u32 v[0:1], s[0:1], s6, v4, v[0:1]
	v_mul_f32_e32 v6, 0x5f7ffffc, v6
	v_mul_f32_e32 v7, 0x2f800000, v6
	v_trunc_f32_e32 v7, v7
	v_madmk_f32 v6, v7, 0xcf800000, v6
	v_cvt_u32_f32_e32 v9, v6
	v_cvt_u32_f32_e32 v10, v7
	v_mov_b32_e32 v8, s11
	v_add_co_u32_e32 v2, vcc, s10, v2
	s_mul_hi_u32 s14, s6, s4
	s_mul_i32 s15, s6, s4
	v_addc_co_u32_e32 v3, vcc, v8, v3, vcc
	s_lshl_b64 s[6:7], s[4:5], 3
	s_mov_b64 s[10:11], 0
	v_mov_b32_e32 v6, 0
	s_branch .LBB1_15
.LBB1_14:                               ;   in Loop: Header=BB1_15 Depth=1
	s_or_b64 exec, exec, s[0:1]
	v_add_co_u32_e32 v4, vcc, s4, v4
	v_addc_co_u32_e32 v5, vcc, 0, v5, vcc
	global_store_dwordx2 v[2:3], v[7:8], off
	v_mov_b32_e32 v7, s14
	v_add_co_u32_e32 v0, vcc, s15, v0
	v_addc_co_u32_e32 v1, vcc, v1, v7, vcc
	v_cmp_le_u64_e32 vcc, s[2:3], v[4:5]
	v_mov_b32_e32 v7, s7
	s_or_b64 s[10:11], vcc, s[10:11]
	v_add_co_u32_e32 v2, vcc, s6, v2
	v_addc_co_u32_e32 v3, vcc, v3, v7, vcc
	s_andn2_b64 exec, exec, s[10:11]
	s_cbranch_execz .LBB1_19
.LBB1_15:                               ; =>This Inner Loop Header: Depth=1
	v_or_b32_e32 v7, s9, v1
	v_cmp_ne_u64_e32 vcc, 0, v[6:7]
                                        ; implicit-def: $vgpr7_vgpr8
	s_and_saveexec_b64 s[0:1], vcc
	s_xor_b64 s[12:13], exec, s[0:1]
	s_cbranch_execz .LBB1_17
; %bb.16:                               ;   in Loop: Header=BB1_15 Depth=1
	s_sub_u32 s5, 0, s8
	v_readfirstlane_b32 s0, v9
	v_readfirstlane_b32 s18, v10
	s_subb_u32 s16, 0, s9
	s_mul_hi_u32 s17, s5, s0
	s_mul_i32 s19, s5, s18
	s_mul_i32 s1, s16, s0
	s_add_i32 s17, s17, s19
	s_add_i32 s17, s17, s1
	s_mul_i32 s20, s5, s0
	s_mul_i32 s19, s0, s17
	s_mul_hi_u32 s21, s0, s20
	s_mul_hi_u32 s1, s0, s17
	s_add_u32 s19, s21, s19
	s_addc_u32 s1, 0, s1
	s_mul_hi_u32 s22, s18, s20
	s_mul_i32 s20, s18, s20
	s_add_u32 s19, s19, s20
	s_mul_hi_u32 s21, s18, s17
	s_addc_u32 s1, s1, s22
	s_addc_u32 s19, s21, 0
	s_mul_i32 s17, s18, s17
	s_add_u32 s1, s1, s17
	s_addc_u32 s17, 0, s19
	s_add_u32 s19, s0, s1
	s_cselect_b64 s[0:1], -1, 0
	s_cmp_lg_u64 s[0:1], 0
	s_addc_u32 s17, s18, s17
	s_mul_i32 s0, s5, s17
	s_mul_hi_u32 s1, s5, s19
	s_add_i32 s0, s1, s0
	s_mul_i32 s16, s16, s19
	s_add_i32 s0, s0, s16
	s_mul_i32 s5, s5, s19
	s_mul_hi_u32 s16, s17, s5
	s_mul_i32 s18, s17, s5
	s_mul_i32 s21, s19, s0
	s_mul_hi_u32 s5, s19, s5
	s_mul_hi_u32 s20, s19, s0
	s_add_u32 s5, s5, s21
	s_addc_u32 s20, 0, s20
	s_add_u32 s5, s5, s18
	s_mul_hi_u32 s1, s17, s0
	s_addc_u32 s5, s20, s16
	s_addc_u32 s1, s1, 0
	s_mul_i32 s0, s17, s0
	s_add_u32 s0, s5, s0
	s_addc_u32 s5, 0, s1
	s_add_u32 s16, s19, s0
	s_cselect_b64 s[0:1], -1, 0
	s_cmp_lg_u64 s[0:1], 0
	s_addc_u32 s5, s17, s5
	v_mad_u64_u32 v[7:8], s[0:1], v0, s5, 0
	v_mul_hi_u32 v11, v0, s16
	v_add_co_u32_e32 v13, vcc, v11, v7
	v_addc_co_u32_e32 v14, vcc, 0, v8, vcc
	v_mad_u64_u32 v[7:8], s[0:1], v1, s16, 0
	v_mad_u64_u32 v[11:12], s[0:1], v1, s5, 0
	v_add_co_u32_e32 v7, vcc, v13, v7
	v_addc_co_u32_e32 v7, vcc, v14, v8, vcc
	v_addc_co_u32_e32 v8, vcc, 0, v12, vcc
	v_add_co_u32_e32 v11, vcc, v7, v11
	v_addc_co_u32_e32 v12, vcc, 0, v8, vcc
	v_mul_lo_u32 v13, s9, v11
	v_mul_lo_u32 v14, s8, v12
	v_mad_u64_u32 v[7:8], s[0:1], s8, v11, 0
	v_add3_u32 v8, v8, v14, v13
	v_sub_u32_e32 v13, v1, v8
	v_mov_b32_e32 v14, s9
	v_sub_co_u32_e32 v7, vcc, v0, v7
	v_subb_co_u32_e64 v13, s[0:1], v13, v14, vcc
	v_subrev_co_u32_e64 v14, s[0:1], s8, v7
	v_subbrev_co_u32_e64 v13, s[0:1], 0, v13, s[0:1]
	v_cmp_le_u32_e64 s[0:1], s9, v13
	v_cndmask_b32_e64 v15, 0, -1, s[0:1]
	v_cmp_le_u32_e64 s[0:1], s8, v14
	v_cndmask_b32_e64 v14, 0, -1, s[0:1]
	v_cmp_eq_u32_e64 s[0:1], s9, v13
	v_cndmask_b32_e64 v13, v15, v14, s[0:1]
	v_add_co_u32_e64 v14, s[0:1], 2, v11
	v_addc_co_u32_e64 v15, s[0:1], 0, v12, s[0:1]
	v_add_co_u32_e64 v16, s[0:1], 1, v11
	v_addc_co_u32_e64 v17, s[0:1], 0, v12, s[0:1]
	v_subb_co_u32_e32 v8, vcc, v1, v8, vcc
	v_cmp_ne_u32_e64 s[0:1], 0, v13
	v_cmp_le_u32_e32 vcc, s9, v8
	v_cndmask_b32_e64 v13, v17, v15, s[0:1]
	v_cndmask_b32_e64 v15, 0, -1, vcc
	v_cmp_le_u32_e32 vcc, s8, v7
	v_cndmask_b32_e64 v7, 0, -1, vcc
	v_cmp_eq_u32_e32 vcc, s9, v8
	v_cndmask_b32_e32 v7, v15, v7, vcc
	v_cmp_ne_u32_e32 vcc, 0, v7
	v_cndmask_b32_e64 v7, v16, v14, s[0:1]
	v_cndmask_b32_e32 v8, v12, v13, vcc
	v_cndmask_b32_e32 v7, v11, v7, vcc
.LBB1_17:                               ;   in Loop: Header=BB1_15 Depth=1
	s_andn2_saveexec_b64 s[0:1], s[12:13]
	s_cbranch_execz .LBB1_14
; %bb.18:                               ;   in Loop: Header=BB1_15 Depth=1
	v_cvt_f32_u32_e32 v7, s8
	s_sub_i32 s5, 0, s8
	v_rcp_iflag_f32_e32 v7, v7
	v_mul_f32_e32 v7, 0x4f7ffffe, v7
	v_cvt_u32_f32_e32 v7, v7
	v_mul_lo_u32 v8, s5, v7
	v_mul_hi_u32 v8, v7, v8
	v_add_u32_e32 v7, v7, v8
	v_mul_hi_u32 v7, v0, v7
	v_mul_lo_u32 v8, v7, s8
	v_add_u32_e32 v11, 1, v7
	v_sub_u32_e32 v8, v0, v8
	v_subrev_u32_e32 v12, s8, v8
	v_cmp_le_u32_e32 vcc, s8, v8
	v_cndmask_b32_e32 v8, v8, v12, vcc
	v_cndmask_b32_e32 v7, v7, v11, vcc
	v_add_u32_e32 v11, 1, v7
	v_cmp_le_u32_e32 vcc, s8, v8
	v_cndmask_b32_e32 v7, v7, v11, vcc
	v_mov_b32_e32 v8, v6
	s_branch .LBB1_14
.LBB1_19:
	s_endpgm
	.section	.rodata,"a",@progbits
	.p2align	6, 0x0
	.amdhsa_kernel _ZN7rocprim17ROCPRIM_400000_NS6detail30init_device_scan_by_key_kernelINS1_19lookback_scan_stateINS0_5tupleIJibEEELb0ELb1EEEN6thrust23THRUST_200600_302600_NS18transform_iteratorI9row_indexNS8_17counting_iteratorImNS8_11use_defaultESC_SC_EESC_SC_EEjNS1_16block_id_wrapperIjLb0EEEEEvT_jjPNSH_10value_typeET0_PNSt15iterator_traitsISK_E10value_typeEmT1_T2_
		.amdhsa_group_segment_fixed_size 0
		.amdhsa_private_segment_fixed_size 0
		.amdhsa_kernarg_size 320
		.amdhsa_user_sgpr_count 6
		.amdhsa_user_sgpr_private_segment_buffer 1
		.amdhsa_user_sgpr_dispatch_ptr 0
		.amdhsa_user_sgpr_queue_ptr 0
		.amdhsa_user_sgpr_kernarg_segment_ptr 1
		.amdhsa_user_sgpr_dispatch_id 0
		.amdhsa_user_sgpr_flat_scratch_init 0
		.amdhsa_user_sgpr_private_segment_size 0
		.amdhsa_uses_dynamic_stack 0
		.amdhsa_system_sgpr_private_segment_wavefront_offset 0
		.amdhsa_system_sgpr_workgroup_id_x 1
		.amdhsa_system_sgpr_workgroup_id_y 0
		.amdhsa_system_sgpr_workgroup_id_z 0
		.amdhsa_system_sgpr_workgroup_info 0
		.amdhsa_system_vgpr_workitem_id 0
		.amdhsa_next_free_vgpr 18
		.amdhsa_next_free_sgpr 23
		.amdhsa_reserve_vcc 1
		.amdhsa_reserve_flat_scratch 0
		.amdhsa_float_round_mode_32 0
		.amdhsa_float_round_mode_16_64 0
		.amdhsa_float_denorm_mode_32 3
		.amdhsa_float_denorm_mode_16_64 3
		.amdhsa_dx10_clamp 1
		.amdhsa_ieee_mode 1
		.amdhsa_fp16_overflow 0
		.amdhsa_exception_fp_ieee_invalid_op 0
		.amdhsa_exception_fp_denorm_src 0
		.amdhsa_exception_fp_ieee_div_zero 0
		.amdhsa_exception_fp_ieee_overflow 0
		.amdhsa_exception_fp_ieee_underflow 0
		.amdhsa_exception_fp_ieee_inexact 0
		.amdhsa_exception_int_div_zero 0
	.end_amdhsa_kernel
	.section	.text._ZN7rocprim17ROCPRIM_400000_NS6detail30init_device_scan_by_key_kernelINS1_19lookback_scan_stateINS0_5tupleIJibEEELb0ELb1EEEN6thrust23THRUST_200600_302600_NS18transform_iteratorI9row_indexNS8_17counting_iteratorImNS8_11use_defaultESC_SC_EESC_SC_EEjNS1_16block_id_wrapperIjLb0EEEEEvT_jjPNSH_10value_typeET0_PNSt15iterator_traitsISK_E10value_typeEmT1_T2_,"axG",@progbits,_ZN7rocprim17ROCPRIM_400000_NS6detail30init_device_scan_by_key_kernelINS1_19lookback_scan_stateINS0_5tupleIJibEEELb0ELb1EEEN6thrust23THRUST_200600_302600_NS18transform_iteratorI9row_indexNS8_17counting_iteratorImNS8_11use_defaultESC_SC_EESC_SC_EEjNS1_16block_id_wrapperIjLb0EEEEEvT_jjPNSH_10value_typeET0_PNSt15iterator_traitsISK_E10value_typeEmT1_T2_,comdat
.Lfunc_end1:
	.size	_ZN7rocprim17ROCPRIM_400000_NS6detail30init_device_scan_by_key_kernelINS1_19lookback_scan_stateINS0_5tupleIJibEEELb0ELb1EEEN6thrust23THRUST_200600_302600_NS18transform_iteratorI9row_indexNS8_17counting_iteratorImNS8_11use_defaultESC_SC_EESC_SC_EEjNS1_16block_id_wrapperIjLb0EEEEEvT_jjPNSH_10value_typeET0_PNSt15iterator_traitsISK_E10value_typeEmT1_T2_, .Lfunc_end1-_ZN7rocprim17ROCPRIM_400000_NS6detail30init_device_scan_by_key_kernelINS1_19lookback_scan_stateINS0_5tupleIJibEEELb0ELb1EEEN6thrust23THRUST_200600_302600_NS18transform_iteratorI9row_indexNS8_17counting_iteratorImNS8_11use_defaultESC_SC_EESC_SC_EEjNS1_16block_id_wrapperIjLb0EEEEEvT_jjPNSH_10value_typeET0_PNSt15iterator_traitsISK_E10value_typeEmT1_T2_
                                        ; -- End function
	.set _ZN7rocprim17ROCPRIM_400000_NS6detail30init_device_scan_by_key_kernelINS1_19lookback_scan_stateINS0_5tupleIJibEEELb0ELb1EEEN6thrust23THRUST_200600_302600_NS18transform_iteratorI9row_indexNS8_17counting_iteratorImNS8_11use_defaultESC_SC_EESC_SC_EEjNS1_16block_id_wrapperIjLb0EEEEEvT_jjPNSH_10value_typeET0_PNSt15iterator_traitsISK_E10value_typeEmT1_T2_.num_vgpr, 18
	.set _ZN7rocprim17ROCPRIM_400000_NS6detail30init_device_scan_by_key_kernelINS1_19lookback_scan_stateINS0_5tupleIJibEEELb0ELb1EEEN6thrust23THRUST_200600_302600_NS18transform_iteratorI9row_indexNS8_17counting_iteratorImNS8_11use_defaultESC_SC_EESC_SC_EEjNS1_16block_id_wrapperIjLb0EEEEEvT_jjPNSH_10value_typeET0_PNSt15iterator_traitsISK_E10value_typeEmT1_T2_.num_agpr, 0
	.set _ZN7rocprim17ROCPRIM_400000_NS6detail30init_device_scan_by_key_kernelINS1_19lookback_scan_stateINS0_5tupleIJibEEELb0ELb1EEEN6thrust23THRUST_200600_302600_NS18transform_iteratorI9row_indexNS8_17counting_iteratorImNS8_11use_defaultESC_SC_EESC_SC_EEjNS1_16block_id_wrapperIjLb0EEEEEvT_jjPNSH_10value_typeET0_PNSt15iterator_traitsISK_E10value_typeEmT1_T2_.numbered_sgpr, 23
	.set _ZN7rocprim17ROCPRIM_400000_NS6detail30init_device_scan_by_key_kernelINS1_19lookback_scan_stateINS0_5tupleIJibEEELb0ELb1EEEN6thrust23THRUST_200600_302600_NS18transform_iteratorI9row_indexNS8_17counting_iteratorImNS8_11use_defaultESC_SC_EESC_SC_EEjNS1_16block_id_wrapperIjLb0EEEEEvT_jjPNSH_10value_typeET0_PNSt15iterator_traitsISK_E10value_typeEmT1_T2_.num_named_barrier, 0
	.set _ZN7rocprim17ROCPRIM_400000_NS6detail30init_device_scan_by_key_kernelINS1_19lookback_scan_stateINS0_5tupleIJibEEELb0ELb1EEEN6thrust23THRUST_200600_302600_NS18transform_iteratorI9row_indexNS8_17counting_iteratorImNS8_11use_defaultESC_SC_EESC_SC_EEjNS1_16block_id_wrapperIjLb0EEEEEvT_jjPNSH_10value_typeET0_PNSt15iterator_traitsISK_E10value_typeEmT1_T2_.private_seg_size, 0
	.set _ZN7rocprim17ROCPRIM_400000_NS6detail30init_device_scan_by_key_kernelINS1_19lookback_scan_stateINS0_5tupleIJibEEELb0ELb1EEEN6thrust23THRUST_200600_302600_NS18transform_iteratorI9row_indexNS8_17counting_iteratorImNS8_11use_defaultESC_SC_EESC_SC_EEjNS1_16block_id_wrapperIjLb0EEEEEvT_jjPNSH_10value_typeET0_PNSt15iterator_traitsISK_E10value_typeEmT1_T2_.uses_vcc, 1
	.set _ZN7rocprim17ROCPRIM_400000_NS6detail30init_device_scan_by_key_kernelINS1_19lookback_scan_stateINS0_5tupleIJibEEELb0ELb1EEEN6thrust23THRUST_200600_302600_NS18transform_iteratorI9row_indexNS8_17counting_iteratorImNS8_11use_defaultESC_SC_EESC_SC_EEjNS1_16block_id_wrapperIjLb0EEEEEvT_jjPNSH_10value_typeET0_PNSt15iterator_traitsISK_E10value_typeEmT1_T2_.uses_flat_scratch, 0
	.set _ZN7rocprim17ROCPRIM_400000_NS6detail30init_device_scan_by_key_kernelINS1_19lookback_scan_stateINS0_5tupleIJibEEELb0ELb1EEEN6thrust23THRUST_200600_302600_NS18transform_iteratorI9row_indexNS8_17counting_iteratorImNS8_11use_defaultESC_SC_EESC_SC_EEjNS1_16block_id_wrapperIjLb0EEEEEvT_jjPNSH_10value_typeET0_PNSt15iterator_traitsISK_E10value_typeEmT1_T2_.has_dyn_sized_stack, 0
	.set _ZN7rocprim17ROCPRIM_400000_NS6detail30init_device_scan_by_key_kernelINS1_19lookback_scan_stateINS0_5tupleIJibEEELb0ELb1EEEN6thrust23THRUST_200600_302600_NS18transform_iteratorI9row_indexNS8_17counting_iteratorImNS8_11use_defaultESC_SC_EESC_SC_EEjNS1_16block_id_wrapperIjLb0EEEEEvT_jjPNSH_10value_typeET0_PNSt15iterator_traitsISK_E10value_typeEmT1_T2_.has_recursion, 0
	.set _ZN7rocprim17ROCPRIM_400000_NS6detail30init_device_scan_by_key_kernelINS1_19lookback_scan_stateINS0_5tupleIJibEEELb0ELb1EEEN6thrust23THRUST_200600_302600_NS18transform_iteratorI9row_indexNS8_17counting_iteratorImNS8_11use_defaultESC_SC_EESC_SC_EEjNS1_16block_id_wrapperIjLb0EEEEEvT_jjPNSH_10value_typeET0_PNSt15iterator_traitsISK_E10value_typeEmT1_T2_.has_indirect_call, 0
	.section	.AMDGPU.csdata,"",@progbits
; Kernel info:
; codeLenInByte = 1228
; TotalNumSgprs: 27
; NumVgprs: 18
; ScratchSize: 0
; MemoryBound: 0
; FloatMode: 240
; IeeeMode: 1
; LDSByteSize: 0 bytes/workgroup (compile time only)
; SGPRBlocks: 3
; VGPRBlocks: 4
; NumSGPRsForWavesPerEU: 27
; NumVGPRsForWavesPerEU: 18
; Occupancy: 10
; WaveLimiterHint : 0
; COMPUTE_PGM_RSRC2:SCRATCH_EN: 0
; COMPUTE_PGM_RSRC2:USER_SGPR: 6
; COMPUTE_PGM_RSRC2:TRAP_HANDLER: 0
; COMPUTE_PGM_RSRC2:TGID_X_EN: 1
; COMPUTE_PGM_RSRC2:TGID_Y_EN: 0
; COMPUTE_PGM_RSRC2:TGID_Z_EN: 0
; COMPUTE_PGM_RSRC2:TIDIG_COMP_CNT: 0
	.section	.text._ZN7rocprim17ROCPRIM_400000_NS6detail30init_device_scan_by_key_kernelINS1_19lookback_scan_stateINS0_5tupleIJibEEELb0ELb1EEENS1_16block_id_wrapperIjLb0EEEEEvT_jjPNS9_10value_typeET0_,"axG",@progbits,_ZN7rocprim17ROCPRIM_400000_NS6detail30init_device_scan_by_key_kernelINS1_19lookback_scan_stateINS0_5tupleIJibEEELb0ELb1EEENS1_16block_id_wrapperIjLb0EEEEEvT_jjPNS9_10value_typeET0_,comdat
	.protected	_ZN7rocprim17ROCPRIM_400000_NS6detail30init_device_scan_by_key_kernelINS1_19lookback_scan_stateINS0_5tupleIJibEEELb0ELb1EEENS1_16block_id_wrapperIjLb0EEEEEvT_jjPNS9_10value_typeET0_ ; -- Begin function _ZN7rocprim17ROCPRIM_400000_NS6detail30init_device_scan_by_key_kernelINS1_19lookback_scan_stateINS0_5tupleIJibEEELb0ELb1EEENS1_16block_id_wrapperIjLb0EEEEEvT_jjPNS9_10value_typeET0_
	.globl	_ZN7rocprim17ROCPRIM_400000_NS6detail30init_device_scan_by_key_kernelINS1_19lookback_scan_stateINS0_5tupleIJibEEELb0ELb1EEENS1_16block_id_wrapperIjLb0EEEEEvT_jjPNS9_10value_typeET0_
	.p2align	8
	.type	_ZN7rocprim17ROCPRIM_400000_NS6detail30init_device_scan_by_key_kernelINS1_19lookback_scan_stateINS0_5tupleIJibEEELb0ELb1EEENS1_16block_id_wrapperIjLb0EEEEEvT_jjPNS9_10value_typeET0_,@function
_ZN7rocprim17ROCPRIM_400000_NS6detail30init_device_scan_by_key_kernelINS1_19lookback_scan_stateINS0_5tupleIJibEEELb0ELb1EEENS1_16block_id_wrapperIjLb0EEEEEvT_jjPNS9_10value_typeET0_: ; @_ZN7rocprim17ROCPRIM_400000_NS6detail30init_device_scan_by_key_kernelINS1_19lookback_scan_stateINS0_5tupleIJibEEELb0ELb1EEENS1_16block_id_wrapperIjLb0EEEEEvT_jjPNS9_10value_typeET0_
; %bb.0:
	s_load_dword s7, s[4:5], 0x2c
	s_load_dwordx2 s[8:9], s[4:5], 0x10
	s_load_dwordx4 s[0:3], s[4:5], 0x0
	s_waitcnt lgkmcnt(0)
	s_and_b32 s4, s7, 0xffff
	s_mul_i32 s6, s6, s4
	s_cmp_eq_u64 s[8:9], 0
	v_add_u32_e32 v0, s6, v0
	s_cbranch_scc1 .LBB2_8
; %bb.1:
	s_cmp_lt_u32 s3, s2
	s_cselect_b32 s4, s3, 0
	s_mov_b32 s7, 0
	v_cmp_eq_u32_e32 vcc, s4, v0
	s_and_saveexec_b64 s[4:5], vcc
	s_cbranch_execz .LBB2_7
; %bb.2:
	s_add_i32 s6, s3, 64
	s_lshl_b64 s[6:7], s[6:7], 4
	s_add_u32 s12, s0, s6
	s_addc_u32 s13, s1, s7
	v_mov_b32_e32 v1, s12
	v_mov_b32_e32 v2, s13
	;;#ASMSTART
	global_load_dwordx4 v[1:4], v[1:2] off glc	
s_waitcnt vmcnt(0)
	;;#ASMEND
	v_and_b32_e32 v4, 0xff, v3
	v_mov_b32_e32 v5, 0
	v_cmp_eq_u64_e32 vcc, 0, v[4:5]
	s_mov_b64 s[10:11], 0
	s_and_saveexec_b64 s[6:7], vcc
	s_cbranch_execz .LBB2_6
; %bb.3:
	v_mov_b32_e32 v6, s12
	v_mov_b32_e32 v7, s13
.LBB2_4:                                ; =>This Inner Loop Header: Depth=1
	;;#ASMSTART
	global_load_dwordx4 v[1:4], v[6:7] off glc	
s_waitcnt vmcnt(0)
	;;#ASMEND
	v_and_b32_e32 v4, 0xff, v3
	v_cmp_ne_u64_e32 vcc, 0, v[4:5]
	s_or_b64 s[10:11], vcc, s[10:11]
	s_andn2_b64 exec, exec, s[10:11]
	s_cbranch_execnz .LBB2_4
; %bb.5:
	s_or_b64 exec, exec, s[10:11]
.LBB2_6:
	s_or_b64 exec, exec, s[6:7]
	v_mov_b32_e32 v3, 0
	global_store_dword v3, v1, s[8:9]
	global_store_byte v3, v2, s[8:9] offset:4
.LBB2_7:
	s_or_b64 exec, exec, s[4:5]
.LBB2_8:
	v_cmp_gt_u32_e32 vcc, s2, v0
	s_and_saveexec_b64 s[2:3], vcc
	s_cbranch_execnz .LBB2_11
; %bb.9:
	s_or_b64 exec, exec, s[2:3]
	v_cmp_gt_u32_e32 vcc, 64, v0
	s_and_saveexec_b64 s[2:3], vcc
	s_cbranch_execnz .LBB2_12
.LBB2_10:
	s_endpgm
.LBB2_11:
	v_add_u32_e32 v1, 64, v0
	v_mov_b32_e32 v2, 0
	v_lshlrev_b64 v[3:4], 4, v[1:2]
	v_mov_b32_e32 v1, s1
	v_add_co_u32_e32 v5, vcc, s0, v3
	v_addc_co_u32_e32 v6, vcc, v1, v4, vcc
	v_mov_b32_e32 v1, v2
	v_mov_b32_e32 v3, v2
	;; [unrolled: 1-line block ×3, first 2 shown]
	global_store_dwordx4 v[5:6], v[1:4], off
	s_or_b64 exec, exec, s[2:3]
	v_cmp_gt_u32_e32 vcc, 64, v0
	s_and_saveexec_b64 s[2:3], vcc
	s_cbranch_execz .LBB2_10
.LBB2_12:
	v_mov_b32_e32 v1, 0
	v_lshlrev_b64 v[2:3], 4, v[0:1]
	v_mov_b32_e32 v0, s1
	v_add_co_u32_e32 v4, vcc, s0, v2
	v_addc_co_u32_e32 v5, vcc, v0, v3, vcc
	v_mov_b32_e32 v2, 0xff
	v_mov_b32_e32 v0, v1
	;; [unrolled: 1-line block ×3, first 2 shown]
	global_store_dwordx4 v[4:5], v[0:3], off
	s_endpgm
	.section	.rodata,"a",@progbits
	.p2align	6, 0x0
	.amdhsa_kernel _ZN7rocprim17ROCPRIM_400000_NS6detail30init_device_scan_by_key_kernelINS1_19lookback_scan_stateINS0_5tupleIJibEEELb0ELb1EEENS1_16block_id_wrapperIjLb0EEEEEvT_jjPNS9_10value_typeET0_
		.amdhsa_group_segment_fixed_size 0
		.amdhsa_private_segment_fixed_size 0
		.amdhsa_kernarg_size 288
		.amdhsa_user_sgpr_count 6
		.amdhsa_user_sgpr_private_segment_buffer 1
		.amdhsa_user_sgpr_dispatch_ptr 0
		.amdhsa_user_sgpr_queue_ptr 0
		.amdhsa_user_sgpr_kernarg_segment_ptr 1
		.amdhsa_user_sgpr_dispatch_id 0
		.amdhsa_user_sgpr_flat_scratch_init 0
		.amdhsa_user_sgpr_private_segment_size 0
		.amdhsa_uses_dynamic_stack 0
		.amdhsa_system_sgpr_private_segment_wavefront_offset 0
		.amdhsa_system_sgpr_workgroup_id_x 1
		.amdhsa_system_sgpr_workgroup_id_y 0
		.amdhsa_system_sgpr_workgroup_id_z 0
		.amdhsa_system_sgpr_workgroup_info 0
		.amdhsa_system_vgpr_workitem_id 0
		.amdhsa_next_free_vgpr 8
		.amdhsa_next_free_sgpr 14
		.amdhsa_reserve_vcc 1
		.amdhsa_reserve_flat_scratch 0
		.amdhsa_float_round_mode_32 0
		.amdhsa_float_round_mode_16_64 0
		.amdhsa_float_denorm_mode_32 3
		.amdhsa_float_denorm_mode_16_64 3
		.amdhsa_dx10_clamp 1
		.amdhsa_ieee_mode 1
		.amdhsa_fp16_overflow 0
		.amdhsa_exception_fp_ieee_invalid_op 0
		.amdhsa_exception_fp_denorm_src 0
		.amdhsa_exception_fp_ieee_div_zero 0
		.amdhsa_exception_fp_ieee_overflow 0
		.amdhsa_exception_fp_ieee_underflow 0
		.amdhsa_exception_fp_ieee_inexact 0
		.amdhsa_exception_int_div_zero 0
	.end_amdhsa_kernel
	.section	.text._ZN7rocprim17ROCPRIM_400000_NS6detail30init_device_scan_by_key_kernelINS1_19lookback_scan_stateINS0_5tupleIJibEEELb0ELb1EEENS1_16block_id_wrapperIjLb0EEEEEvT_jjPNS9_10value_typeET0_,"axG",@progbits,_ZN7rocprim17ROCPRIM_400000_NS6detail30init_device_scan_by_key_kernelINS1_19lookback_scan_stateINS0_5tupleIJibEEELb0ELb1EEENS1_16block_id_wrapperIjLb0EEEEEvT_jjPNS9_10value_typeET0_,comdat
.Lfunc_end2:
	.size	_ZN7rocprim17ROCPRIM_400000_NS6detail30init_device_scan_by_key_kernelINS1_19lookback_scan_stateINS0_5tupleIJibEEELb0ELb1EEENS1_16block_id_wrapperIjLb0EEEEEvT_jjPNS9_10value_typeET0_, .Lfunc_end2-_ZN7rocprim17ROCPRIM_400000_NS6detail30init_device_scan_by_key_kernelINS1_19lookback_scan_stateINS0_5tupleIJibEEELb0ELb1EEENS1_16block_id_wrapperIjLb0EEEEEvT_jjPNS9_10value_typeET0_
                                        ; -- End function
	.set _ZN7rocprim17ROCPRIM_400000_NS6detail30init_device_scan_by_key_kernelINS1_19lookback_scan_stateINS0_5tupleIJibEEELb0ELb1EEENS1_16block_id_wrapperIjLb0EEEEEvT_jjPNS9_10value_typeET0_.num_vgpr, 8
	.set _ZN7rocprim17ROCPRIM_400000_NS6detail30init_device_scan_by_key_kernelINS1_19lookback_scan_stateINS0_5tupleIJibEEELb0ELb1EEENS1_16block_id_wrapperIjLb0EEEEEvT_jjPNS9_10value_typeET0_.num_agpr, 0
	.set _ZN7rocprim17ROCPRIM_400000_NS6detail30init_device_scan_by_key_kernelINS1_19lookback_scan_stateINS0_5tupleIJibEEELb0ELb1EEENS1_16block_id_wrapperIjLb0EEEEEvT_jjPNS9_10value_typeET0_.numbered_sgpr, 14
	.set _ZN7rocprim17ROCPRIM_400000_NS6detail30init_device_scan_by_key_kernelINS1_19lookback_scan_stateINS0_5tupleIJibEEELb0ELb1EEENS1_16block_id_wrapperIjLb0EEEEEvT_jjPNS9_10value_typeET0_.num_named_barrier, 0
	.set _ZN7rocprim17ROCPRIM_400000_NS6detail30init_device_scan_by_key_kernelINS1_19lookback_scan_stateINS0_5tupleIJibEEELb0ELb1EEENS1_16block_id_wrapperIjLb0EEEEEvT_jjPNS9_10value_typeET0_.private_seg_size, 0
	.set _ZN7rocprim17ROCPRIM_400000_NS6detail30init_device_scan_by_key_kernelINS1_19lookback_scan_stateINS0_5tupleIJibEEELb0ELb1EEENS1_16block_id_wrapperIjLb0EEEEEvT_jjPNS9_10value_typeET0_.uses_vcc, 1
	.set _ZN7rocprim17ROCPRIM_400000_NS6detail30init_device_scan_by_key_kernelINS1_19lookback_scan_stateINS0_5tupleIJibEEELb0ELb1EEENS1_16block_id_wrapperIjLb0EEEEEvT_jjPNS9_10value_typeET0_.uses_flat_scratch, 0
	.set _ZN7rocprim17ROCPRIM_400000_NS6detail30init_device_scan_by_key_kernelINS1_19lookback_scan_stateINS0_5tupleIJibEEELb0ELb1EEENS1_16block_id_wrapperIjLb0EEEEEvT_jjPNS9_10value_typeET0_.has_dyn_sized_stack, 0
	.set _ZN7rocprim17ROCPRIM_400000_NS6detail30init_device_scan_by_key_kernelINS1_19lookback_scan_stateINS0_5tupleIJibEEELb0ELb1EEENS1_16block_id_wrapperIjLb0EEEEEvT_jjPNS9_10value_typeET0_.has_recursion, 0
	.set _ZN7rocprim17ROCPRIM_400000_NS6detail30init_device_scan_by_key_kernelINS1_19lookback_scan_stateINS0_5tupleIJibEEELb0ELb1EEENS1_16block_id_wrapperIjLb0EEEEEvT_jjPNS9_10value_typeET0_.has_indirect_call, 0
	.section	.AMDGPU.csdata,"",@progbits
; Kernel info:
; codeLenInByte = 372
; TotalNumSgprs: 18
; NumVgprs: 8
; ScratchSize: 0
; MemoryBound: 0
; FloatMode: 240
; IeeeMode: 1
; LDSByteSize: 0 bytes/workgroup (compile time only)
; SGPRBlocks: 2
; VGPRBlocks: 1
; NumSGPRsForWavesPerEU: 18
; NumVGPRsForWavesPerEU: 8
; Occupancy: 10
; WaveLimiterHint : 0
; COMPUTE_PGM_RSRC2:SCRATCH_EN: 0
; COMPUTE_PGM_RSRC2:USER_SGPR: 6
; COMPUTE_PGM_RSRC2:TRAP_HANDLER: 0
; COMPUTE_PGM_RSRC2:TGID_X_EN: 1
; COMPUTE_PGM_RSRC2:TGID_Y_EN: 0
; COMPUTE_PGM_RSRC2:TGID_Z_EN: 0
; COMPUTE_PGM_RSRC2:TIDIG_COMP_CNT: 0
	.section	.text._ZN7rocprim17ROCPRIM_400000_NS6detail17trampoline_kernelINS0_14default_configENS1_27scan_by_key_config_selectorImiEEZZNS1_16scan_by_key_implILNS1_25lookback_scan_determinismE0ELb0ES3_N6thrust23THRUST_200600_302600_NS18transform_iteratorI9row_indexNS9_17counting_iteratorImNS9_11use_defaultESD_SD_EESD_SD_EENS9_6detail15normal_iteratorINS9_10device_ptrIiEEEESK_iNS9_4plusIvEENS9_8equal_toIvEEiEE10hipError_tPvRmT2_T3_T4_T5_mT6_T7_P12ihipStream_tbENKUlT_T0_E_clISt17integral_constantIbLb0EES15_EEDaS10_S11_EUlS10_E_NS1_11comp_targetILNS1_3genE0ELNS1_11target_archE4294967295ELNS1_3gpuE0ELNS1_3repE0EEENS1_30default_config_static_selectorELNS0_4arch9wavefront6targetE1EEEvT1_,"axG",@progbits,_ZN7rocprim17ROCPRIM_400000_NS6detail17trampoline_kernelINS0_14default_configENS1_27scan_by_key_config_selectorImiEEZZNS1_16scan_by_key_implILNS1_25lookback_scan_determinismE0ELb0ES3_N6thrust23THRUST_200600_302600_NS18transform_iteratorI9row_indexNS9_17counting_iteratorImNS9_11use_defaultESD_SD_EESD_SD_EENS9_6detail15normal_iteratorINS9_10device_ptrIiEEEESK_iNS9_4plusIvEENS9_8equal_toIvEEiEE10hipError_tPvRmT2_T3_T4_T5_mT6_T7_P12ihipStream_tbENKUlT_T0_E_clISt17integral_constantIbLb0EES15_EEDaS10_S11_EUlS10_E_NS1_11comp_targetILNS1_3genE0ELNS1_11target_archE4294967295ELNS1_3gpuE0ELNS1_3repE0EEENS1_30default_config_static_selectorELNS0_4arch9wavefront6targetE1EEEvT1_,comdat
	.protected	_ZN7rocprim17ROCPRIM_400000_NS6detail17trampoline_kernelINS0_14default_configENS1_27scan_by_key_config_selectorImiEEZZNS1_16scan_by_key_implILNS1_25lookback_scan_determinismE0ELb0ES3_N6thrust23THRUST_200600_302600_NS18transform_iteratorI9row_indexNS9_17counting_iteratorImNS9_11use_defaultESD_SD_EESD_SD_EENS9_6detail15normal_iteratorINS9_10device_ptrIiEEEESK_iNS9_4plusIvEENS9_8equal_toIvEEiEE10hipError_tPvRmT2_T3_T4_T5_mT6_T7_P12ihipStream_tbENKUlT_T0_E_clISt17integral_constantIbLb0EES15_EEDaS10_S11_EUlS10_E_NS1_11comp_targetILNS1_3genE0ELNS1_11target_archE4294967295ELNS1_3gpuE0ELNS1_3repE0EEENS1_30default_config_static_selectorELNS0_4arch9wavefront6targetE1EEEvT1_ ; -- Begin function _ZN7rocprim17ROCPRIM_400000_NS6detail17trampoline_kernelINS0_14default_configENS1_27scan_by_key_config_selectorImiEEZZNS1_16scan_by_key_implILNS1_25lookback_scan_determinismE0ELb0ES3_N6thrust23THRUST_200600_302600_NS18transform_iteratorI9row_indexNS9_17counting_iteratorImNS9_11use_defaultESD_SD_EESD_SD_EENS9_6detail15normal_iteratorINS9_10device_ptrIiEEEESK_iNS9_4plusIvEENS9_8equal_toIvEEiEE10hipError_tPvRmT2_T3_T4_T5_mT6_T7_P12ihipStream_tbENKUlT_T0_E_clISt17integral_constantIbLb0EES15_EEDaS10_S11_EUlS10_E_NS1_11comp_targetILNS1_3genE0ELNS1_11target_archE4294967295ELNS1_3gpuE0ELNS1_3repE0EEENS1_30default_config_static_selectorELNS0_4arch9wavefront6targetE1EEEvT1_
	.globl	_ZN7rocprim17ROCPRIM_400000_NS6detail17trampoline_kernelINS0_14default_configENS1_27scan_by_key_config_selectorImiEEZZNS1_16scan_by_key_implILNS1_25lookback_scan_determinismE0ELb0ES3_N6thrust23THRUST_200600_302600_NS18transform_iteratorI9row_indexNS9_17counting_iteratorImNS9_11use_defaultESD_SD_EESD_SD_EENS9_6detail15normal_iteratorINS9_10device_ptrIiEEEESK_iNS9_4plusIvEENS9_8equal_toIvEEiEE10hipError_tPvRmT2_T3_T4_T5_mT6_T7_P12ihipStream_tbENKUlT_T0_E_clISt17integral_constantIbLb0EES15_EEDaS10_S11_EUlS10_E_NS1_11comp_targetILNS1_3genE0ELNS1_11target_archE4294967295ELNS1_3gpuE0ELNS1_3repE0EEENS1_30default_config_static_selectorELNS0_4arch9wavefront6targetE1EEEvT1_
	.p2align	8
	.type	_ZN7rocprim17ROCPRIM_400000_NS6detail17trampoline_kernelINS0_14default_configENS1_27scan_by_key_config_selectorImiEEZZNS1_16scan_by_key_implILNS1_25lookback_scan_determinismE0ELb0ES3_N6thrust23THRUST_200600_302600_NS18transform_iteratorI9row_indexNS9_17counting_iteratorImNS9_11use_defaultESD_SD_EESD_SD_EENS9_6detail15normal_iteratorINS9_10device_ptrIiEEEESK_iNS9_4plusIvEENS9_8equal_toIvEEiEE10hipError_tPvRmT2_T3_T4_T5_mT6_T7_P12ihipStream_tbENKUlT_T0_E_clISt17integral_constantIbLb0EES15_EEDaS10_S11_EUlS10_E_NS1_11comp_targetILNS1_3genE0ELNS1_11target_archE4294967295ELNS1_3gpuE0ELNS1_3repE0EEENS1_30default_config_static_selectorELNS0_4arch9wavefront6targetE1EEEvT1_,@function
_ZN7rocprim17ROCPRIM_400000_NS6detail17trampoline_kernelINS0_14default_configENS1_27scan_by_key_config_selectorImiEEZZNS1_16scan_by_key_implILNS1_25lookback_scan_determinismE0ELb0ES3_N6thrust23THRUST_200600_302600_NS18transform_iteratorI9row_indexNS9_17counting_iteratorImNS9_11use_defaultESD_SD_EESD_SD_EENS9_6detail15normal_iteratorINS9_10device_ptrIiEEEESK_iNS9_4plusIvEENS9_8equal_toIvEEiEE10hipError_tPvRmT2_T3_T4_T5_mT6_T7_P12ihipStream_tbENKUlT_T0_E_clISt17integral_constantIbLb0EES15_EEDaS10_S11_EUlS10_E_NS1_11comp_targetILNS1_3genE0ELNS1_11target_archE4294967295ELNS1_3gpuE0ELNS1_3repE0EEENS1_30default_config_static_selectorELNS0_4arch9wavefront6targetE1EEEvT1_: ; @_ZN7rocprim17ROCPRIM_400000_NS6detail17trampoline_kernelINS0_14default_configENS1_27scan_by_key_config_selectorImiEEZZNS1_16scan_by_key_implILNS1_25lookback_scan_determinismE0ELb0ES3_N6thrust23THRUST_200600_302600_NS18transform_iteratorI9row_indexNS9_17counting_iteratorImNS9_11use_defaultESD_SD_EESD_SD_EENS9_6detail15normal_iteratorINS9_10device_ptrIiEEEESK_iNS9_4plusIvEENS9_8equal_toIvEEiEE10hipError_tPvRmT2_T3_T4_T5_mT6_T7_P12ihipStream_tbENKUlT_T0_E_clISt17integral_constantIbLb0EES15_EEDaS10_S11_EUlS10_E_NS1_11comp_targetILNS1_3genE0ELNS1_11target_archE4294967295ELNS1_3gpuE0ELNS1_3repE0EEENS1_30default_config_static_selectorELNS0_4arch9wavefront6targetE1EEEvT1_
; %bb.0:
	.section	.rodata,"a",@progbits
	.p2align	6, 0x0
	.amdhsa_kernel _ZN7rocprim17ROCPRIM_400000_NS6detail17trampoline_kernelINS0_14default_configENS1_27scan_by_key_config_selectorImiEEZZNS1_16scan_by_key_implILNS1_25lookback_scan_determinismE0ELb0ES3_N6thrust23THRUST_200600_302600_NS18transform_iteratorI9row_indexNS9_17counting_iteratorImNS9_11use_defaultESD_SD_EESD_SD_EENS9_6detail15normal_iteratorINS9_10device_ptrIiEEEESK_iNS9_4plusIvEENS9_8equal_toIvEEiEE10hipError_tPvRmT2_T3_T4_T5_mT6_T7_P12ihipStream_tbENKUlT_T0_E_clISt17integral_constantIbLb0EES15_EEDaS10_S11_EUlS10_E_NS1_11comp_targetILNS1_3genE0ELNS1_11target_archE4294967295ELNS1_3gpuE0ELNS1_3repE0EEENS1_30default_config_static_selectorELNS0_4arch9wavefront6targetE1EEEvT1_
		.amdhsa_group_segment_fixed_size 0
		.amdhsa_private_segment_fixed_size 0
		.amdhsa_kernarg_size 120
		.amdhsa_user_sgpr_count 6
		.amdhsa_user_sgpr_private_segment_buffer 1
		.amdhsa_user_sgpr_dispatch_ptr 0
		.amdhsa_user_sgpr_queue_ptr 0
		.amdhsa_user_sgpr_kernarg_segment_ptr 1
		.amdhsa_user_sgpr_dispatch_id 0
		.amdhsa_user_sgpr_flat_scratch_init 0
		.amdhsa_user_sgpr_private_segment_size 0
		.amdhsa_uses_dynamic_stack 0
		.amdhsa_system_sgpr_private_segment_wavefront_offset 0
		.amdhsa_system_sgpr_workgroup_id_x 1
		.amdhsa_system_sgpr_workgroup_id_y 0
		.amdhsa_system_sgpr_workgroup_id_z 0
		.amdhsa_system_sgpr_workgroup_info 0
		.amdhsa_system_vgpr_workitem_id 0
		.amdhsa_next_free_vgpr 1
		.amdhsa_next_free_sgpr 0
		.amdhsa_reserve_vcc 0
		.amdhsa_reserve_flat_scratch 0
		.amdhsa_float_round_mode_32 0
		.amdhsa_float_round_mode_16_64 0
		.amdhsa_float_denorm_mode_32 3
		.amdhsa_float_denorm_mode_16_64 3
		.amdhsa_dx10_clamp 1
		.amdhsa_ieee_mode 1
		.amdhsa_fp16_overflow 0
		.amdhsa_exception_fp_ieee_invalid_op 0
		.amdhsa_exception_fp_denorm_src 0
		.amdhsa_exception_fp_ieee_div_zero 0
		.amdhsa_exception_fp_ieee_overflow 0
		.amdhsa_exception_fp_ieee_underflow 0
		.amdhsa_exception_fp_ieee_inexact 0
		.amdhsa_exception_int_div_zero 0
	.end_amdhsa_kernel
	.section	.text._ZN7rocprim17ROCPRIM_400000_NS6detail17trampoline_kernelINS0_14default_configENS1_27scan_by_key_config_selectorImiEEZZNS1_16scan_by_key_implILNS1_25lookback_scan_determinismE0ELb0ES3_N6thrust23THRUST_200600_302600_NS18transform_iteratorI9row_indexNS9_17counting_iteratorImNS9_11use_defaultESD_SD_EESD_SD_EENS9_6detail15normal_iteratorINS9_10device_ptrIiEEEESK_iNS9_4plusIvEENS9_8equal_toIvEEiEE10hipError_tPvRmT2_T3_T4_T5_mT6_T7_P12ihipStream_tbENKUlT_T0_E_clISt17integral_constantIbLb0EES15_EEDaS10_S11_EUlS10_E_NS1_11comp_targetILNS1_3genE0ELNS1_11target_archE4294967295ELNS1_3gpuE0ELNS1_3repE0EEENS1_30default_config_static_selectorELNS0_4arch9wavefront6targetE1EEEvT1_,"axG",@progbits,_ZN7rocprim17ROCPRIM_400000_NS6detail17trampoline_kernelINS0_14default_configENS1_27scan_by_key_config_selectorImiEEZZNS1_16scan_by_key_implILNS1_25lookback_scan_determinismE0ELb0ES3_N6thrust23THRUST_200600_302600_NS18transform_iteratorI9row_indexNS9_17counting_iteratorImNS9_11use_defaultESD_SD_EESD_SD_EENS9_6detail15normal_iteratorINS9_10device_ptrIiEEEESK_iNS9_4plusIvEENS9_8equal_toIvEEiEE10hipError_tPvRmT2_T3_T4_T5_mT6_T7_P12ihipStream_tbENKUlT_T0_E_clISt17integral_constantIbLb0EES15_EEDaS10_S11_EUlS10_E_NS1_11comp_targetILNS1_3genE0ELNS1_11target_archE4294967295ELNS1_3gpuE0ELNS1_3repE0EEENS1_30default_config_static_selectorELNS0_4arch9wavefront6targetE1EEEvT1_,comdat
.Lfunc_end3:
	.size	_ZN7rocprim17ROCPRIM_400000_NS6detail17trampoline_kernelINS0_14default_configENS1_27scan_by_key_config_selectorImiEEZZNS1_16scan_by_key_implILNS1_25lookback_scan_determinismE0ELb0ES3_N6thrust23THRUST_200600_302600_NS18transform_iteratorI9row_indexNS9_17counting_iteratorImNS9_11use_defaultESD_SD_EESD_SD_EENS9_6detail15normal_iteratorINS9_10device_ptrIiEEEESK_iNS9_4plusIvEENS9_8equal_toIvEEiEE10hipError_tPvRmT2_T3_T4_T5_mT6_T7_P12ihipStream_tbENKUlT_T0_E_clISt17integral_constantIbLb0EES15_EEDaS10_S11_EUlS10_E_NS1_11comp_targetILNS1_3genE0ELNS1_11target_archE4294967295ELNS1_3gpuE0ELNS1_3repE0EEENS1_30default_config_static_selectorELNS0_4arch9wavefront6targetE1EEEvT1_, .Lfunc_end3-_ZN7rocprim17ROCPRIM_400000_NS6detail17trampoline_kernelINS0_14default_configENS1_27scan_by_key_config_selectorImiEEZZNS1_16scan_by_key_implILNS1_25lookback_scan_determinismE0ELb0ES3_N6thrust23THRUST_200600_302600_NS18transform_iteratorI9row_indexNS9_17counting_iteratorImNS9_11use_defaultESD_SD_EESD_SD_EENS9_6detail15normal_iteratorINS9_10device_ptrIiEEEESK_iNS9_4plusIvEENS9_8equal_toIvEEiEE10hipError_tPvRmT2_T3_T4_T5_mT6_T7_P12ihipStream_tbENKUlT_T0_E_clISt17integral_constantIbLb0EES15_EEDaS10_S11_EUlS10_E_NS1_11comp_targetILNS1_3genE0ELNS1_11target_archE4294967295ELNS1_3gpuE0ELNS1_3repE0EEENS1_30default_config_static_selectorELNS0_4arch9wavefront6targetE1EEEvT1_
                                        ; -- End function
	.set _ZN7rocprim17ROCPRIM_400000_NS6detail17trampoline_kernelINS0_14default_configENS1_27scan_by_key_config_selectorImiEEZZNS1_16scan_by_key_implILNS1_25lookback_scan_determinismE0ELb0ES3_N6thrust23THRUST_200600_302600_NS18transform_iteratorI9row_indexNS9_17counting_iteratorImNS9_11use_defaultESD_SD_EESD_SD_EENS9_6detail15normal_iteratorINS9_10device_ptrIiEEEESK_iNS9_4plusIvEENS9_8equal_toIvEEiEE10hipError_tPvRmT2_T3_T4_T5_mT6_T7_P12ihipStream_tbENKUlT_T0_E_clISt17integral_constantIbLb0EES15_EEDaS10_S11_EUlS10_E_NS1_11comp_targetILNS1_3genE0ELNS1_11target_archE4294967295ELNS1_3gpuE0ELNS1_3repE0EEENS1_30default_config_static_selectorELNS0_4arch9wavefront6targetE1EEEvT1_.num_vgpr, 0
	.set _ZN7rocprim17ROCPRIM_400000_NS6detail17trampoline_kernelINS0_14default_configENS1_27scan_by_key_config_selectorImiEEZZNS1_16scan_by_key_implILNS1_25lookback_scan_determinismE0ELb0ES3_N6thrust23THRUST_200600_302600_NS18transform_iteratorI9row_indexNS9_17counting_iteratorImNS9_11use_defaultESD_SD_EESD_SD_EENS9_6detail15normal_iteratorINS9_10device_ptrIiEEEESK_iNS9_4plusIvEENS9_8equal_toIvEEiEE10hipError_tPvRmT2_T3_T4_T5_mT6_T7_P12ihipStream_tbENKUlT_T0_E_clISt17integral_constantIbLb0EES15_EEDaS10_S11_EUlS10_E_NS1_11comp_targetILNS1_3genE0ELNS1_11target_archE4294967295ELNS1_3gpuE0ELNS1_3repE0EEENS1_30default_config_static_selectorELNS0_4arch9wavefront6targetE1EEEvT1_.num_agpr, 0
	.set _ZN7rocprim17ROCPRIM_400000_NS6detail17trampoline_kernelINS0_14default_configENS1_27scan_by_key_config_selectorImiEEZZNS1_16scan_by_key_implILNS1_25lookback_scan_determinismE0ELb0ES3_N6thrust23THRUST_200600_302600_NS18transform_iteratorI9row_indexNS9_17counting_iteratorImNS9_11use_defaultESD_SD_EESD_SD_EENS9_6detail15normal_iteratorINS9_10device_ptrIiEEEESK_iNS9_4plusIvEENS9_8equal_toIvEEiEE10hipError_tPvRmT2_T3_T4_T5_mT6_T7_P12ihipStream_tbENKUlT_T0_E_clISt17integral_constantIbLb0EES15_EEDaS10_S11_EUlS10_E_NS1_11comp_targetILNS1_3genE0ELNS1_11target_archE4294967295ELNS1_3gpuE0ELNS1_3repE0EEENS1_30default_config_static_selectorELNS0_4arch9wavefront6targetE1EEEvT1_.numbered_sgpr, 0
	.set _ZN7rocprim17ROCPRIM_400000_NS6detail17trampoline_kernelINS0_14default_configENS1_27scan_by_key_config_selectorImiEEZZNS1_16scan_by_key_implILNS1_25lookback_scan_determinismE0ELb0ES3_N6thrust23THRUST_200600_302600_NS18transform_iteratorI9row_indexNS9_17counting_iteratorImNS9_11use_defaultESD_SD_EESD_SD_EENS9_6detail15normal_iteratorINS9_10device_ptrIiEEEESK_iNS9_4plusIvEENS9_8equal_toIvEEiEE10hipError_tPvRmT2_T3_T4_T5_mT6_T7_P12ihipStream_tbENKUlT_T0_E_clISt17integral_constantIbLb0EES15_EEDaS10_S11_EUlS10_E_NS1_11comp_targetILNS1_3genE0ELNS1_11target_archE4294967295ELNS1_3gpuE0ELNS1_3repE0EEENS1_30default_config_static_selectorELNS0_4arch9wavefront6targetE1EEEvT1_.num_named_barrier, 0
	.set _ZN7rocprim17ROCPRIM_400000_NS6detail17trampoline_kernelINS0_14default_configENS1_27scan_by_key_config_selectorImiEEZZNS1_16scan_by_key_implILNS1_25lookback_scan_determinismE0ELb0ES3_N6thrust23THRUST_200600_302600_NS18transform_iteratorI9row_indexNS9_17counting_iteratorImNS9_11use_defaultESD_SD_EESD_SD_EENS9_6detail15normal_iteratorINS9_10device_ptrIiEEEESK_iNS9_4plusIvEENS9_8equal_toIvEEiEE10hipError_tPvRmT2_T3_T4_T5_mT6_T7_P12ihipStream_tbENKUlT_T0_E_clISt17integral_constantIbLb0EES15_EEDaS10_S11_EUlS10_E_NS1_11comp_targetILNS1_3genE0ELNS1_11target_archE4294967295ELNS1_3gpuE0ELNS1_3repE0EEENS1_30default_config_static_selectorELNS0_4arch9wavefront6targetE1EEEvT1_.private_seg_size, 0
	.set _ZN7rocprim17ROCPRIM_400000_NS6detail17trampoline_kernelINS0_14default_configENS1_27scan_by_key_config_selectorImiEEZZNS1_16scan_by_key_implILNS1_25lookback_scan_determinismE0ELb0ES3_N6thrust23THRUST_200600_302600_NS18transform_iteratorI9row_indexNS9_17counting_iteratorImNS9_11use_defaultESD_SD_EESD_SD_EENS9_6detail15normal_iteratorINS9_10device_ptrIiEEEESK_iNS9_4plusIvEENS9_8equal_toIvEEiEE10hipError_tPvRmT2_T3_T4_T5_mT6_T7_P12ihipStream_tbENKUlT_T0_E_clISt17integral_constantIbLb0EES15_EEDaS10_S11_EUlS10_E_NS1_11comp_targetILNS1_3genE0ELNS1_11target_archE4294967295ELNS1_3gpuE0ELNS1_3repE0EEENS1_30default_config_static_selectorELNS0_4arch9wavefront6targetE1EEEvT1_.uses_vcc, 0
	.set _ZN7rocprim17ROCPRIM_400000_NS6detail17trampoline_kernelINS0_14default_configENS1_27scan_by_key_config_selectorImiEEZZNS1_16scan_by_key_implILNS1_25lookback_scan_determinismE0ELb0ES3_N6thrust23THRUST_200600_302600_NS18transform_iteratorI9row_indexNS9_17counting_iteratorImNS9_11use_defaultESD_SD_EESD_SD_EENS9_6detail15normal_iteratorINS9_10device_ptrIiEEEESK_iNS9_4plusIvEENS9_8equal_toIvEEiEE10hipError_tPvRmT2_T3_T4_T5_mT6_T7_P12ihipStream_tbENKUlT_T0_E_clISt17integral_constantIbLb0EES15_EEDaS10_S11_EUlS10_E_NS1_11comp_targetILNS1_3genE0ELNS1_11target_archE4294967295ELNS1_3gpuE0ELNS1_3repE0EEENS1_30default_config_static_selectorELNS0_4arch9wavefront6targetE1EEEvT1_.uses_flat_scratch, 0
	.set _ZN7rocprim17ROCPRIM_400000_NS6detail17trampoline_kernelINS0_14default_configENS1_27scan_by_key_config_selectorImiEEZZNS1_16scan_by_key_implILNS1_25lookback_scan_determinismE0ELb0ES3_N6thrust23THRUST_200600_302600_NS18transform_iteratorI9row_indexNS9_17counting_iteratorImNS9_11use_defaultESD_SD_EESD_SD_EENS9_6detail15normal_iteratorINS9_10device_ptrIiEEEESK_iNS9_4plusIvEENS9_8equal_toIvEEiEE10hipError_tPvRmT2_T3_T4_T5_mT6_T7_P12ihipStream_tbENKUlT_T0_E_clISt17integral_constantIbLb0EES15_EEDaS10_S11_EUlS10_E_NS1_11comp_targetILNS1_3genE0ELNS1_11target_archE4294967295ELNS1_3gpuE0ELNS1_3repE0EEENS1_30default_config_static_selectorELNS0_4arch9wavefront6targetE1EEEvT1_.has_dyn_sized_stack, 0
	.set _ZN7rocprim17ROCPRIM_400000_NS6detail17trampoline_kernelINS0_14default_configENS1_27scan_by_key_config_selectorImiEEZZNS1_16scan_by_key_implILNS1_25lookback_scan_determinismE0ELb0ES3_N6thrust23THRUST_200600_302600_NS18transform_iteratorI9row_indexNS9_17counting_iteratorImNS9_11use_defaultESD_SD_EESD_SD_EENS9_6detail15normal_iteratorINS9_10device_ptrIiEEEESK_iNS9_4plusIvEENS9_8equal_toIvEEiEE10hipError_tPvRmT2_T3_T4_T5_mT6_T7_P12ihipStream_tbENKUlT_T0_E_clISt17integral_constantIbLb0EES15_EEDaS10_S11_EUlS10_E_NS1_11comp_targetILNS1_3genE0ELNS1_11target_archE4294967295ELNS1_3gpuE0ELNS1_3repE0EEENS1_30default_config_static_selectorELNS0_4arch9wavefront6targetE1EEEvT1_.has_recursion, 0
	.set _ZN7rocprim17ROCPRIM_400000_NS6detail17trampoline_kernelINS0_14default_configENS1_27scan_by_key_config_selectorImiEEZZNS1_16scan_by_key_implILNS1_25lookback_scan_determinismE0ELb0ES3_N6thrust23THRUST_200600_302600_NS18transform_iteratorI9row_indexNS9_17counting_iteratorImNS9_11use_defaultESD_SD_EESD_SD_EENS9_6detail15normal_iteratorINS9_10device_ptrIiEEEESK_iNS9_4plusIvEENS9_8equal_toIvEEiEE10hipError_tPvRmT2_T3_T4_T5_mT6_T7_P12ihipStream_tbENKUlT_T0_E_clISt17integral_constantIbLb0EES15_EEDaS10_S11_EUlS10_E_NS1_11comp_targetILNS1_3genE0ELNS1_11target_archE4294967295ELNS1_3gpuE0ELNS1_3repE0EEENS1_30default_config_static_selectorELNS0_4arch9wavefront6targetE1EEEvT1_.has_indirect_call, 0
	.section	.AMDGPU.csdata,"",@progbits
; Kernel info:
; codeLenInByte = 0
; TotalNumSgprs: 4
; NumVgprs: 0
; ScratchSize: 0
; MemoryBound: 0
; FloatMode: 240
; IeeeMode: 1
; LDSByteSize: 0 bytes/workgroup (compile time only)
; SGPRBlocks: 0
; VGPRBlocks: 0
; NumSGPRsForWavesPerEU: 4
; NumVGPRsForWavesPerEU: 1
; Occupancy: 10
; WaveLimiterHint : 0
; COMPUTE_PGM_RSRC2:SCRATCH_EN: 0
; COMPUTE_PGM_RSRC2:USER_SGPR: 6
; COMPUTE_PGM_RSRC2:TRAP_HANDLER: 0
; COMPUTE_PGM_RSRC2:TGID_X_EN: 1
; COMPUTE_PGM_RSRC2:TGID_Y_EN: 0
; COMPUTE_PGM_RSRC2:TGID_Z_EN: 0
; COMPUTE_PGM_RSRC2:TIDIG_COMP_CNT: 0
	.section	.text._ZN7rocprim17ROCPRIM_400000_NS6detail17trampoline_kernelINS0_14default_configENS1_27scan_by_key_config_selectorImiEEZZNS1_16scan_by_key_implILNS1_25lookback_scan_determinismE0ELb0ES3_N6thrust23THRUST_200600_302600_NS18transform_iteratorI9row_indexNS9_17counting_iteratorImNS9_11use_defaultESD_SD_EESD_SD_EENS9_6detail15normal_iteratorINS9_10device_ptrIiEEEESK_iNS9_4plusIvEENS9_8equal_toIvEEiEE10hipError_tPvRmT2_T3_T4_T5_mT6_T7_P12ihipStream_tbENKUlT_T0_E_clISt17integral_constantIbLb0EES15_EEDaS10_S11_EUlS10_E_NS1_11comp_targetILNS1_3genE10ELNS1_11target_archE1201ELNS1_3gpuE5ELNS1_3repE0EEENS1_30default_config_static_selectorELNS0_4arch9wavefront6targetE1EEEvT1_,"axG",@progbits,_ZN7rocprim17ROCPRIM_400000_NS6detail17trampoline_kernelINS0_14default_configENS1_27scan_by_key_config_selectorImiEEZZNS1_16scan_by_key_implILNS1_25lookback_scan_determinismE0ELb0ES3_N6thrust23THRUST_200600_302600_NS18transform_iteratorI9row_indexNS9_17counting_iteratorImNS9_11use_defaultESD_SD_EESD_SD_EENS9_6detail15normal_iteratorINS9_10device_ptrIiEEEESK_iNS9_4plusIvEENS9_8equal_toIvEEiEE10hipError_tPvRmT2_T3_T4_T5_mT6_T7_P12ihipStream_tbENKUlT_T0_E_clISt17integral_constantIbLb0EES15_EEDaS10_S11_EUlS10_E_NS1_11comp_targetILNS1_3genE10ELNS1_11target_archE1201ELNS1_3gpuE5ELNS1_3repE0EEENS1_30default_config_static_selectorELNS0_4arch9wavefront6targetE1EEEvT1_,comdat
	.protected	_ZN7rocprim17ROCPRIM_400000_NS6detail17trampoline_kernelINS0_14default_configENS1_27scan_by_key_config_selectorImiEEZZNS1_16scan_by_key_implILNS1_25lookback_scan_determinismE0ELb0ES3_N6thrust23THRUST_200600_302600_NS18transform_iteratorI9row_indexNS9_17counting_iteratorImNS9_11use_defaultESD_SD_EESD_SD_EENS9_6detail15normal_iteratorINS9_10device_ptrIiEEEESK_iNS9_4plusIvEENS9_8equal_toIvEEiEE10hipError_tPvRmT2_T3_T4_T5_mT6_T7_P12ihipStream_tbENKUlT_T0_E_clISt17integral_constantIbLb0EES15_EEDaS10_S11_EUlS10_E_NS1_11comp_targetILNS1_3genE10ELNS1_11target_archE1201ELNS1_3gpuE5ELNS1_3repE0EEENS1_30default_config_static_selectorELNS0_4arch9wavefront6targetE1EEEvT1_ ; -- Begin function _ZN7rocprim17ROCPRIM_400000_NS6detail17trampoline_kernelINS0_14default_configENS1_27scan_by_key_config_selectorImiEEZZNS1_16scan_by_key_implILNS1_25lookback_scan_determinismE0ELb0ES3_N6thrust23THRUST_200600_302600_NS18transform_iteratorI9row_indexNS9_17counting_iteratorImNS9_11use_defaultESD_SD_EESD_SD_EENS9_6detail15normal_iteratorINS9_10device_ptrIiEEEESK_iNS9_4plusIvEENS9_8equal_toIvEEiEE10hipError_tPvRmT2_T3_T4_T5_mT6_T7_P12ihipStream_tbENKUlT_T0_E_clISt17integral_constantIbLb0EES15_EEDaS10_S11_EUlS10_E_NS1_11comp_targetILNS1_3genE10ELNS1_11target_archE1201ELNS1_3gpuE5ELNS1_3repE0EEENS1_30default_config_static_selectorELNS0_4arch9wavefront6targetE1EEEvT1_
	.globl	_ZN7rocprim17ROCPRIM_400000_NS6detail17trampoline_kernelINS0_14default_configENS1_27scan_by_key_config_selectorImiEEZZNS1_16scan_by_key_implILNS1_25lookback_scan_determinismE0ELb0ES3_N6thrust23THRUST_200600_302600_NS18transform_iteratorI9row_indexNS9_17counting_iteratorImNS9_11use_defaultESD_SD_EESD_SD_EENS9_6detail15normal_iteratorINS9_10device_ptrIiEEEESK_iNS9_4plusIvEENS9_8equal_toIvEEiEE10hipError_tPvRmT2_T3_T4_T5_mT6_T7_P12ihipStream_tbENKUlT_T0_E_clISt17integral_constantIbLb0EES15_EEDaS10_S11_EUlS10_E_NS1_11comp_targetILNS1_3genE10ELNS1_11target_archE1201ELNS1_3gpuE5ELNS1_3repE0EEENS1_30default_config_static_selectorELNS0_4arch9wavefront6targetE1EEEvT1_
	.p2align	8
	.type	_ZN7rocprim17ROCPRIM_400000_NS6detail17trampoline_kernelINS0_14default_configENS1_27scan_by_key_config_selectorImiEEZZNS1_16scan_by_key_implILNS1_25lookback_scan_determinismE0ELb0ES3_N6thrust23THRUST_200600_302600_NS18transform_iteratorI9row_indexNS9_17counting_iteratorImNS9_11use_defaultESD_SD_EESD_SD_EENS9_6detail15normal_iteratorINS9_10device_ptrIiEEEESK_iNS9_4plusIvEENS9_8equal_toIvEEiEE10hipError_tPvRmT2_T3_T4_T5_mT6_T7_P12ihipStream_tbENKUlT_T0_E_clISt17integral_constantIbLb0EES15_EEDaS10_S11_EUlS10_E_NS1_11comp_targetILNS1_3genE10ELNS1_11target_archE1201ELNS1_3gpuE5ELNS1_3repE0EEENS1_30default_config_static_selectorELNS0_4arch9wavefront6targetE1EEEvT1_,@function
_ZN7rocprim17ROCPRIM_400000_NS6detail17trampoline_kernelINS0_14default_configENS1_27scan_by_key_config_selectorImiEEZZNS1_16scan_by_key_implILNS1_25lookback_scan_determinismE0ELb0ES3_N6thrust23THRUST_200600_302600_NS18transform_iteratorI9row_indexNS9_17counting_iteratorImNS9_11use_defaultESD_SD_EESD_SD_EENS9_6detail15normal_iteratorINS9_10device_ptrIiEEEESK_iNS9_4plusIvEENS9_8equal_toIvEEiEE10hipError_tPvRmT2_T3_T4_T5_mT6_T7_P12ihipStream_tbENKUlT_T0_E_clISt17integral_constantIbLb0EES15_EEDaS10_S11_EUlS10_E_NS1_11comp_targetILNS1_3genE10ELNS1_11target_archE1201ELNS1_3gpuE5ELNS1_3repE0EEENS1_30default_config_static_selectorELNS0_4arch9wavefront6targetE1EEEvT1_: ; @_ZN7rocprim17ROCPRIM_400000_NS6detail17trampoline_kernelINS0_14default_configENS1_27scan_by_key_config_selectorImiEEZZNS1_16scan_by_key_implILNS1_25lookback_scan_determinismE0ELb0ES3_N6thrust23THRUST_200600_302600_NS18transform_iteratorI9row_indexNS9_17counting_iteratorImNS9_11use_defaultESD_SD_EESD_SD_EENS9_6detail15normal_iteratorINS9_10device_ptrIiEEEESK_iNS9_4plusIvEENS9_8equal_toIvEEiEE10hipError_tPvRmT2_T3_T4_T5_mT6_T7_P12ihipStream_tbENKUlT_T0_E_clISt17integral_constantIbLb0EES15_EEDaS10_S11_EUlS10_E_NS1_11comp_targetILNS1_3genE10ELNS1_11target_archE1201ELNS1_3gpuE5ELNS1_3repE0EEENS1_30default_config_static_selectorELNS0_4arch9wavefront6targetE1EEEvT1_
; %bb.0:
	.section	.rodata,"a",@progbits
	.p2align	6, 0x0
	.amdhsa_kernel _ZN7rocprim17ROCPRIM_400000_NS6detail17trampoline_kernelINS0_14default_configENS1_27scan_by_key_config_selectorImiEEZZNS1_16scan_by_key_implILNS1_25lookback_scan_determinismE0ELb0ES3_N6thrust23THRUST_200600_302600_NS18transform_iteratorI9row_indexNS9_17counting_iteratorImNS9_11use_defaultESD_SD_EESD_SD_EENS9_6detail15normal_iteratorINS9_10device_ptrIiEEEESK_iNS9_4plusIvEENS9_8equal_toIvEEiEE10hipError_tPvRmT2_T3_T4_T5_mT6_T7_P12ihipStream_tbENKUlT_T0_E_clISt17integral_constantIbLb0EES15_EEDaS10_S11_EUlS10_E_NS1_11comp_targetILNS1_3genE10ELNS1_11target_archE1201ELNS1_3gpuE5ELNS1_3repE0EEENS1_30default_config_static_selectorELNS0_4arch9wavefront6targetE1EEEvT1_
		.amdhsa_group_segment_fixed_size 0
		.amdhsa_private_segment_fixed_size 0
		.amdhsa_kernarg_size 120
		.amdhsa_user_sgpr_count 6
		.amdhsa_user_sgpr_private_segment_buffer 1
		.amdhsa_user_sgpr_dispatch_ptr 0
		.amdhsa_user_sgpr_queue_ptr 0
		.amdhsa_user_sgpr_kernarg_segment_ptr 1
		.amdhsa_user_sgpr_dispatch_id 0
		.amdhsa_user_sgpr_flat_scratch_init 0
		.amdhsa_user_sgpr_private_segment_size 0
		.amdhsa_uses_dynamic_stack 0
		.amdhsa_system_sgpr_private_segment_wavefront_offset 0
		.amdhsa_system_sgpr_workgroup_id_x 1
		.amdhsa_system_sgpr_workgroup_id_y 0
		.amdhsa_system_sgpr_workgroup_id_z 0
		.amdhsa_system_sgpr_workgroup_info 0
		.amdhsa_system_vgpr_workitem_id 0
		.amdhsa_next_free_vgpr 1
		.amdhsa_next_free_sgpr 0
		.amdhsa_reserve_vcc 0
		.amdhsa_reserve_flat_scratch 0
		.amdhsa_float_round_mode_32 0
		.amdhsa_float_round_mode_16_64 0
		.amdhsa_float_denorm_mode_32 3
		.amdhsa_float_denorm_mode_16_64 3
		.amdhsa_dx10_clamp 1
		.amdhsa_ieee_mode 1
		.amdhsa_fp16_overflow 0
		.amdhsa_exception_fp_ieee_invalid_op 0
		.amdhsa_exception_fp_denorm_src 0
		.amdhsa_exception_fp_ieee_div_zero 0
		.amdhsa_exception_fp_ieee_overflow 0
		.amdhsa_exception_fp_ieee_underflow 0
		.amdhsa_exception_fp_ieee_inexact 0
		.amdhsa_exception_int_div_zero 0
	.end_amdhsa_kernel
	.section	.text._ZN7rocprim17ROCPRIM_400000_NS6detail17trampoline_kernelINS0_14default_configENS1_27scan_by_key_config_selectorImiEEZZNS1_16scan_by_key_implILNS1_25lookback_scan_determinismE0ELb0ES3_N6thrust23THRUST_200600_302600_NS18transform_iteratorI9row_indexNS9_17counting_iteratorImNS9_11use_defaultESD_SD_EESD_SD_EENS9_6detail15normal_iteratorINS9_10device_ptrIiEEEESK_iNS9_4plusIvEENS9_8equal_toIvEEiEE10hipError_tPvRmT2_T3_T4_T5_mT6_T7_P12ihipStream_tbENKUlT_T0_E_clISt17integral_constantIbLb0EES15_EEDaS10_S11_EUlS10_E_NS1_11comp_targetILNS1_3genE10ELNS1_11target_archE1201ELNS1_3gpuE5ELNS1_3repE0EEENS1_30default_config_static_selectorELNS0_4arch9wavefront6targetE1EEEvT1_,"axG",@progbits,_ZN7rocprim17ROCPRIM_400000_NS6detail17trampoline_kernelINS0_14default_configENS1_27scan_by_key_config_selectorImiEEZZNS1_16scan_by_key_implILNS1_25lookback_scan_determinismE0ELb0ES3_N6thrust23THRUST_200600_302600_NS18transform_iteratorI9row_indexNS9_17counting_iteratorImNS9_11use_defaultESD_SD_EESD_SD_EENS9_6detail15normal_iteratorINS9_10device_ptrIiEEEESK_iNS9_4plusIvEENS9_8equal_toIvEEiEE10hipError_tPvRmT2_T3_T4_T5_mT6_T7_P12ihipStream_tbENKUlT_T0_E_clISt17integral_constantIbLb0EES15_EEDaS10_S11_EUlS10_E_NS1_11comp_targetILNS1_3genE10ELNS1_11target_archE1201ELNS1_3gpuE5ELNS1_3repE0EEENS1_30default_config_static_selectorELNS0_4arch9wavefront6targetE1EEEvT1_,comdat
.Lfunc_end4:
	.size	_ZN7rocprim17ROCPRIM_400000_NS6detail17trampoline_kernelINS0_14default_configENS1_27scan_by_key_config_selectorImiEEZZNS1_16scan_by_key_implILNS1_25lookback_scan_determinismE0ELb0ES3_N6thrust23THRUST_200600_302600_NS18transform_iteratorI9row_indexNS9_17counting_iteratorImNS9_11use_defaultESD_SD_EESD_SD_EENS9_6detail15normal_iteratorINS9_10device_ptrIiEEEESK_iNS9_4plusIvEENS9_8equal_toIvEEiEE10hipError_tPvRmT2_T3_T4_T5_mT6_T7_P12ihipStream_tbENKUlT_T0_E_clISt17integral_constantIbLb0EES15_EEDaS10_S11_EUlS10_E_NS1_11comp_targetILNS1_3genE10ELNS1_11target_archE1201ELNS1_3gpuE5ELNS1_3repE0EEENS1_30default_config_static_selectorELNS0_4arch9wavefront6targetE1EEEvT1_, .Lfunc_end4-_ZN7rocprim17ROCPRIM_400000_NS6detail17trampoline_kernelINS0_14default_configENS1_27scan_by_key_config_selectorImiEEZZNS1_16scan_by_key_implILNS1_25lookback_scan_determinismE0ELb0ES3_N6thrust23THRUST_200600_302600_NS18transform_iteratorI9row_indexNS9_17counting_iteratorImNS9_11use_defaultESD_SD_EESD_SD_EENS9_6detail15normal_iteratorINS9_10device_ptrIiEEEESK_iNS9_4plusIvEENS9_8equal_toIvEEiEE10hipError_tPvRmT2_T3_T4_T5_mT6_T7_P12ihipStream_tbENKUlT_T0_E_clISt17integral_constantIbLb0EES15_EEDaS10_S11_EUlS10_E_NS1_11comp_targetILNS1_3genE10ELNS1_11target_archE1201ELNS1_3gpuE5ELNS1_3repE0EEENS1_30default_config_static_selectorELNS0_4arch9wavefront6targetE1EEEvT1_
                                        ; -- End function
	.set _ZN7rocprim17ROCPRIM_400000_NS6detail17trampoline_kernelINS0_14default_configENS1_27scan_by_key_config_selectorImiEEZZNS1_16scan_by_key_implILNS1_25lookback_scan_determinismE0ELb0ES3_N6thrust23THRUST_200600_302600_NS18transform_iteratorI9row_indexNS9_17counting_iteratorImNS9_11use_defaultESD_SD_EESD_SD_EENS9_6detail15normal_iteratorINS9_10device_ptrIiEEEESK_iNS9_4plusIvEENS9_8equal_toIvEEiEE10hipError_tPvRmT2_T3_T4_T5_mT6_T7_P12ihipStream_tbENKUlT_T0_E_clISt17integral_constantIbLb0EES15_EEDaS10_S11_EUlS10_E_NS1_11comp_targetILNS1_3genE10ELNS1_11target_archE1201ELNS1_3gpuE5ELNS1_3repE0EEENS1_30default_config_static_selectorELNS0_4arch9wavefront6targetE1EEEvT1_.num_vgpr, 0
	.set _ZN7rocprim17ROCPRIM_400000_NS6detail17trampoline_kernelINS0_14default_configENS1_27scan_by_key_config_selectorImiEEZZNS1_16scan_by_key_implILNS1_25lookback_scan_determinismE0ELb0ES3_N6thrust23THRUST_200600_302600_NS18transform_iteratorI9row_indexNS9_17counting_iteratorImNS9_11use_defaultESD_SD_EESD_SD_EENS9_6detail15normal_iteratorINS9_10device_ptrIiEEEESK_iNS9_4plusIvEENS9_8equal_toIvEEiEE10hipError_tPvRmT2_T3_T4_T5_mT6_T7_P12ihipStream_tbENKUlT_T0_E_clISt17integral_constantIbLb0EES15_EEDaS10_S11_EUlS10_E_NS1_11comp_targetILNS1_3genE10ELNS1_11target_archE1201ELNS1_3gpuE5ELNS1_3repE0EEENS1_30default_config_static_selectorELNS0_4arch9wavefront6targetE1EEEvT1_.num_agpr, 0
	.set _ZN7rocprim17ROCPRIM_400000_NS6detail17trampoline_kernelINS0_14default_configENS1_27scan_by_key_config_selectorImiEEZZNS1_16scan_by_key_implILNS1_25lookback_scan_determinismE0ELb0ES3_N6thrust23THRUST_200600_302600_NS18transform_iteratorI9row_indexNS9_17counting_iteratorImNS9_11use_defaultESD_SD_EESD_SD_EENS9_6detail15normal_iteratorINS9_10device_ptrIiEEEESK_iNS9_4plusIvEENS9_8equal_toIvEEiEE10hipError_tPvRmT2_T3_T4_T5_mT6_T7_P12ihipStream_tbENKUlT_T0_E_clISt17integral_constantIbLb0EES15_EEDaS10_S11_EUlS10_E_NS1_11comp_targetILNS1_3genE10ELNS1_11target_archE1201ELNS1_3gpuE5ELNS1_3repE0EEENS1_30default_config_static_selectorELNS0_4arch9wavefront6targetE1EEEvT1_.numbered_sgpr, 0
	.set _ZN7rocprim17ROCPRIM_400000_NS6detail17trampoline_kernelINS0_14default_configENS1_27scan_by_key_config_selectorImiEEZZNS1_16scan_by_key_implILNS1_25lookback_scan_determinismE0ELb0ES3_N6thrust23THRUST_200600_302600_NS18transform_iteratorI9row_indexNS9_17counting_iteratorImNS9_11use_defaultESD_SD_EESD_SD_EENS9_6detail15normal_iteratorINS9_10device_ptrIiEEEESK_iNS9_4plusIvEENS9_8equal_toIvEEiEE10hipError_tPvRmT2_T3_T4_T5_mT6_T7_P12ihipStream_tbENKUlT_T0_E_clISt17integral_constantIbLb0EES15_EEDaS10_S11_EUlS10_E_NS1_11comp_targetILNS1_3genE10ELNS1_11target_archE1201ELNS1_3gpuE5ELNS1_3repE0EEENS1_30default_config_static_selectorELNS0_4arch9wavefront6targetE1EEEvT1_.num_named_barrier, 0
	.set _ZN7rocprim17ROCPRIM_400000_NS6detail17trampoline_kernelINS0_14default_configENS1_27scan_by_key_config_selectorImiEEZZNS1_16scan_by_key_implILNS1_25lookback_scan_determinismE0ELb0ES3_N6thrust23THRUST_200600_302600_NS18transform_iteratorI9row_indexNS9_17counting_iteratorImNS9_11use_defaultESD_SD_EESD_SD_EENS9_6detail15normal_iteratorINS9_10device_ptrIiEEEESK_iNS9_4plusIvEENS9_8equal_toIvEEiEE10hipError_tPvRmT2_T3_T4_T5_mT6_T7_P12ihipStream_tbENKUlT_T0_E_clISt17integral_constantIbLb0EES15_EEDaS10_S11_EUlS10_E_NS1_11comp_targetILNS1_3genE10ELNS1_11target_archE1201ELNS1_3gpuE5ELNS1_3repE0EEENS1_30default_config_static_selectorELNS0_4arch9wavefront6targetE1EEEvT1_.private_seg_size, 0
	.set _ZN7rocprim17ROCPRIM_400000_NS6detail17trampoline_kernelINS0_14default_configENS1_27scan_by_key_config_selectorImiEEZZNS1_16scan_by_key_implILNS1_25lookback_scan_determinismE0ELb0ES3_N6thrust23THRUST_200600_302600_NS18transform_iteratorI9row_indexNS9_17counting_iteratorImNS9_11use_defaultESD_SD_EESD_SD_EENS9_6detail15normal_iteratorINS9_10device_ptrIiEEEESK_iNS9_4plusIvEENS9_8equal_toIvEEiEE10hipError_tPvRmT2_T3_T4_T5_mT6_T7_P12ihipStream_tbENKUlT_T0_E_clISt17integral_constantIbLb0EES15_EEDaS10_S11_EUlS10_E_NS1_11comp_targetILNS1_3genE10ELNS1_11target_archE1201ELNS1_3gpuE5ELNS1_3repE0EEENS1_30default_config_static_selectorELNS0_4arch9wavefront6targetE1EEEvT1_.uses_vcc, 0
	.set _ZN7rocprim17ROCPRIM_400000_NS6detail17trampoline_kernelINS0_14default_configENS1_27scan_by_key_config_selectorImiEEZZNS1_16scan_by_key_implILNS1_25lookback_scan_determinismE0ELb0ES3_N6thrust23THRUST_200600_302600_NS18transform_iteratorI9row_indexNS9_17counting_iteratorImNS9_11use_defaultESD_SD_EESD_SD_EENS9_6detail15normal_iteratorINS9_10device_ptrIiEEEESK_iNS9_4plusIvEENS9_8equal_toIvEEiEE10hipError_tPvRmT2_T3_T4_T5_mT6_T7_P12ihipStream_tbENKUlT_T0_E_clISt17integral_constantIbLb0EES15_EEDaS10_S11_EUlS10_E_NS1_11comp_targetILNS1_3genE10ELNS1_11target_archE1201ELNS1_3gpuE5ELNS1_3repE0EEENS1_30default_config_static_selectorELNS0_4arch9wavefront6targetE1EEEvT1_.uses_flat_scratch, 0
	.set _ZN7rocprim17ROCPRIM_400000_NS6detail17trampoline_kernelINS0_14default_configENS1_27scan_by_key_config_selectorImiEEZZNS1_16scan_by_key_implILNS1_25lookback_scan_determinismE0ELb0ES3_N6thrust23THRUST_200600_302600_NS18transform_iteratorI9row_indexNS9_17counting_iteratorImNS9_11use_defaultESD_SD_EESD_SD_EENS9_6detail15normal_iteratorINS9_10device_ptrIiEEEESK_iNS9_4plusIvEENS9_8equal_toIvEEiEE10hipError_tPvRmT2_T3_T4_T5_mT6_T7_P12ihipStream_tbENKUlT_T0_E_clISt17integral_constantIbLb0EES15_EEDaS10_S11_EUlS10_E_NS1_11comp_targetILNS1_3genE10ELNS1_11target_archE1201ELNS1_3gpuE5ELNS1_3repE0EEENS1_30default_config_static_selectorELNS0_4arch9wavefront6targetE1EEEvT1_.has_dyn_sized_stack, 0
	.set _ZN7rocprim17ROCPRIM_400000_NS6detail17trampoline_kernelINS0_14default_configENS1_27scan_by_key_config_selectorImiEEZZNS1_16scan_by_key_implILNS1_25lookback_scan_determinismE0ELb0ES3_N6thrust23THRUST_200600_302600_NS18transform_iteratorI9row_indexNS9_17counting_iteratorImNS9_11use_defaultESD_SD_EESD_SD_EENS9_6detail15normal_iteratorINS9_10device_ptrIiEEEESK_iNS9_4plusIvEENS9_8equal_toIvEEiEE10hipError_tPvRmT2_T3_T4_T5_mT6_T7_P12ihipStream_tbENKUlT_T0_E_clISt17integral_constantIbLb0EES15_EEDaS10_S11_EUlS10_E_NS1_11comp_targetILNS1_3genE10ELNS1_11target_archE1201ELNS1_3gpuE5ELNS1_3repE0EEENS1_30default_config_static_selectorELNS0_4arch9wavefront6targetE1EEEvT1_.has_recursion, 0
	.set _ZN7rocprim17ROCPRIM_400000_NS6detail17trampoline_kernelINS0_14default_configENS1_27scan_by_key_config_selectorImiEEZZNS1_16scan_by_key_implILNS1_25lookback_scan_determinismE0ELb0ES3_N6thrust23THRUST_200600_302600_NS18transform_iteratorI9row_indexNS9_17counting_iteratorImNS9_11use_defaultESD_SD_EESD_SD_EENS9_6detail15normal_iteratorINS9_10device_ptrIiEEEESK_iNS9_4plusIvEENS9_8equal_toIvEEiEE10hipError_tPvRmT2_T3_T4_T5_mT6_T7_P12ihipStream_tbENKUlT_T0_E_clISt17integral_constantIbLb0EES15_EEDaS10_S11_EUlS10_E_NS1_11comp_targetILNS1_3genE10ELNS1_11target_archE1201ELNS1_3gpuE5ELNS1_3repE0EEENS1_30default_config_static_selectorELNS0_4arch9wavefront6targetE1EEEvT1_.has_indirect_call, 0
	.section	.AMDGPU.csdata,"",@progbits
; Kernel info:
; codeLenInByte = 0
; TotalNumSgprs: 4
; NumVgprs: 0
; ScratchSize: 0
; MemoryBound: 0
; FloatMode: 240
; IeeeMode: 1
; LDSByteSize: 0 bytes/workgroup (compile time only)
; SGPRBlocks: 0
; VGPRBlocks: 0
; NumSGPRsForWavesPerEU: 4
; NumVGPRsForWavesPerEU: 1
; Occupancy: 10
; WaveLimiterHint : 0
; COMPUTE_PGM_RSRC2:SCRATCH_EN: 0
; COMPUTE_PGM_RSRC2:USER_SGPR: 6
; COMPUTE_PGM_RSRC2:TRAP_HANDLER: 0
; COMPUTE_PGM_RSRC2:TGID_X_EN: 1
; COMPUTE_PGM_RSRC2:TGID_Y_EN: 0
; COMPUTE_PGM_RSRC2:TGID_Z_EN: 0
; COMPUTE_PGM_RSRC2:TIDIG_COMP_CNT: 0
	.section	.text._ZN7rocprim17ROCPRIM_400000_NS6detail17trampoline_kernelINS0_14default_configENS1_27scan_by_key_config_selectorImiEEZZNS1_16scan_by_key_implILNS1_25lookback_scan_determinismE0ELb0ES3_N6thrust23THRUST_200600_302600_NS18transform_iteratorI9row_indexNS9_17counting_iteratorImNS9_11use_defaultESD_SD_EESD_SD_EENS9_6detail15normal_iteratorINS9_10device_ptrIiEEEESK_iNS9_4plusIvEENS9_8equal_toIvEEiEE10hipError_tPvRmT2_T3_T4_T5_mT6_T7_P12ihipStream_tbENKUlT_T0_E_clISt17integral_constantIbLb0EES15_EEDaS10_S11_EUlS10_E_NS1_11comp_targetILNS1_3genE5ELNS1_11target_archE942ELNS1_3gpuE9ELNS1_3repE0EEENS1_30default_config_static_selectorELNS0_4arch9wavefront6targetE1EEEvT1_,"axG",@progbits,_ZN7rocprim17ROCPRIM_400000_NS6detail17trampoline_kernelINS0_14default_configENS1_27scan_by_key_config_selectorImiEEZZNS1_16scan_by_key_implILNS1_25lookback_scan_determinismE0ELb0ES3_N6thrust23THRUST_200600_302600_NS18transform_iteratorI9row_indexNS9_17counting_iteratorImNS9_11use_defaultESD_SD_EESD_SD_EENS9_6detail15normal_iteratorINS9_10device_ptrIiEEEESK_iNS9_4plusIvEENS9_8equal_toIvEEiEE10hipError_tPvRmT2_T3_T4_T5_mT6_T7_P12ihipStream_tbENKUlT_T0_E_clISt17integral_constantIbLb0EES15_EEDaS10_S11_EUlS10_E_NS1_11comp_targetILNS1_3genE5ELNS1_11target_archE942ELNS1_3gpuE9ELNS1_3repE0EEENS1_30default_config_static_selectorELNS0_4arch9wavefront6targetE1EEEvT1_,comdat
	.protected	_ZN7rocprim17ROCPRIM_400000_NS6detail17trampoline_kernelINS0_14default_configENS1_27scan_by_key_config_selectorImiEEZZNS1_16scan_by_key_implILNS1_25lookback_scan_determinismE0ELb0ES3_N6thrust23THRUST_200600_302600_NS18transform_iteratorI9row_indexNS9_17counting_iteratorImNS9_11use_defaultESD_SD_EESD_SD_EENS9_6detail15normal_iteratorINS9_10device_ptrIiEEEESK_iNS9_4plusIvEENS9_8equal_toIvEEiEE10hipError_tPvRmT2_T3_T4_T5_mT6_T7_P12ihipStream_tbENKUlT_T0_E_clISt17integral_constantIbLb0EES15_EEDaS10_S11_EUlS10_E_NS1_11comp_targetILNS1_3genE5ELNS1_11target_archE942ELNS1_3gpuE9ELNS1_3repE0EEENS1_30default_config_static_selectorELNS0_4arch9wavefront6targetE1EEEvT1_ ; -- Begin function _ZN7rocprim17ROCPRIM_400000_NS6detail17trampoline_kernelINS0_14default_configENS1_27scan_by_key_config_selectorImiEEZZNS1_16scan_by_key_implILNS1_25lookback_scan_determinismE0ELb0ES3_N6thrust23THRUST_200600_302600_NS18transform_iteratorI9row_indexNS9_17counting_iteratorImNS9_11use_defaultESD_SD_EESD_SD_EENS9_6detail15normal_iteratorINS9_10device_ptrIiEEEESK_iNS9_4plusIvEENS9_8equal_toIvEEiEE10hipError_tPvRmT2_T3_T4_T5_mT6_T7_P12ihipStream_tbENKUlT_T0_E_clISt17integral_constantIbLb0EES15_EEDaS10_S11_EUlS10_E_NS1_11comp_targetILNS1_3genE5ELNS1_11target_archE942ELNS1_3gpuE9ELNS1_3repE0EEENS1_30default_config_static_selectorELNS0_4arch9wavefront6targetE1EEEvT1_
	.globl	_ZN7rocprim17ROCPRIM_400000_NS6detail17trampoline_kernelINS0_14default_configENS1_27scan_by_key_config_selectorImiEEZZNS1_16scan_by_key_implILNS1_25lookback_scan_determinismE0ELb0ES3_N6thrust23THRUST_200600_302600_NS18transform_iteratorI9row_indexNS9_17counting_iteratorImNS9_11use_defaultESD_SD_EESD_SD_EENS9_6detail15normal_iteratorINS9_10device_ptrIiEEEESK_iNS9_4plusIvEENS9_8equal_toIvEEiEE10hipError_tPvRmT2_T3_T4_T5_mT6_T7_P12ihipStream_tbENKUlT_T0_E_clISt17integral_constantIbLb0EES15_EEDaS10_S11_EUlS10_E_NS1_11comp_targetILNS1_3genE5ELNS1_11target_archE942ELNS1_3gpuE9ELNS1_3repE0EEENS1_30default_config_static_selectorELNS0_4arch9wavefront6targetE1EEEvT1_
	.p2align	8
	.type	_ZN7rocprim17ROCPRIM_400000_NS6detail17trampoline_kernelINS0_14default_configENS1_27scan_by_key_config_selectorImiEEZZNS1_16scan_by_key_implILNS1_25lookback_scan_determinismE0ELb0ES3_N6thrust23THRUST_200600_302600_NS18transform_iteratorI9row_indexNS9_17counting_iteratorImNS9_11use_defaultESD_SD_EESD_SD_EENS9_6detail15normal_iteratorINS9_10device_ptrIiEEEESK_iNS9_4plusIvEENS9_8equal_toIvEEiEE10hipError_tPvRmT2_T3_T4_T5_mT6_T7_P12ihipStream_tbENKUlT_T0_E_clISt17integral_constantIbLb0EES15_EEDaS10_S11_EUlS10_E_NS1_11comp_targetILNS1_3genE5ELNS1_11target_archE942ELNS1_3gpuE9ELNS1_3repE0EEENS1_30default_config_static_selectorELNS0_4arch9wavefront6targetE1EEEvT1_,@function
_ZN7rocprim17ROCPRIM_400000_NS6detail17trampoline_kernelINS0_14default_configENS1_27scan_by_key_config_selectorImiEEZZNS1_16scan_by_key_implILNS1_25lookback_scan_determinismE0ELb0ES3_N6thrust23THRUST_200600_302600_NS18transform_iteratorI9row_indexNS9_17counting_iteratorImNS9_11use_defaultESD_SD_EESD_SD_EENS9_6detail15normal_iteratorINS9_10device_ptrIiEEEESK_iNS9_4plusIvEENS9_8equal_toIvEEiEE10hipError_tPvRmT2_T3_T4_T5_mT6_T7_P12ihipStream_tbENKUlT_T0_E_clISt17integral_constantIbLb0EES15_EEDaS10_S11_EUlS10_E_NS1_11comp_targetILNS1_3genE5ELNS1_11target_archE942ELNS1_3gpuE9ELNS1_3repE0EEENS1_30default_config_static_selectorELNS0_4arch9wavefront6targetE1EEEvT1_: ; @_ZN7rocprim17ROCPRIM_400000_NS6detail17trampoline_kernelINS0_14default_configENS1_27scan_by_key_config_selectorImiEEZZNS1_16scan_by_key_implILNS1_25lookback_scan_determinismE0ELb0ES3_N6thrust23THRUST_200600_302600_NS18transform_iteratorI9row_indexNS9_17counting_iteratorImNS9_11use_defaultESD_SD_EESD_SD_EENS9_6detail15normal_iteratorINS9_10device_ptrIiEEEESK_iNS9_4plusIvEENS9_8equal_toIvEEiEE10hipError_tPvRmT2_T3_T4_T5_mT6_T7_P12ihipStream_tbENKUlT_T0_E_clISt17integral_constantIbLb0EES15_EEDaS10_S11_EUlS10_E_NS1_11comp_targetILNS1_3genE5ELNS1_11target_archE942ELNS1_3gpuE9ELNS1_3repE0EEENS1_30default_config_static_selectorELNS0_4arch9wavefront6targetE1EEEvT1_
; %bb.0:
	.section	.rodata,"a",@progbits
	.p2align	6, 0x0
	.amdhsa_kernel _ZN7rocprim17ROCPRIM_400000_NS6detail17trampoline_kernelINS0_14default_configENS1_27scan_by_key_config_selectorImiEEZZNS1_16scan_by_key_implILNS1_25lookback_scan_determinismE0ELb0ES3_N6thrust23THRUST_200600_302600_NS18transform_iteratorI9row_indexNS9_17counting_iteratorImNS9_11use_defaultESD_SD_EESD_SD_EENS9_6detail15normal_iteratorINS9_10device_ptrIiEEEESK_iNS9_4plusIvEENS9_8equal_toIvEEiEE10hipError_tPvRmT2_T3_T4_T5_mT6_T7_P12ihipStream_tbENKUlT_T0_E_clISt17integral_constantIbLb0EES15_EEDaS10_S11_EUlS10_E_NS1_11comp_targetILNS1_3genE5ELNS1_11target_archE942ELNS1_3gpuE9ELNS1_3repE0EEENS1_30default_config_static_selectorELNS0_4arch9wavefront6targetE1EEEvT1_
		.amdhsa_group_segment_fixed_size 0
		.amdhsa_private_segment_fixed_size 0
		.amdhsa_kernarg_size 120
		.amdhsa_user_sgpr_count 6
		.amdhsa_user_sgpr_private_segment_buffer 1
		.amdhsa_user_sgpr_dispatch_ptr 0
		.amdhsa_user_sgpr_queue_ptr 0
		.amdhsa_user_sgpr_kernarg_segment_ptr 1
		.amdhsa_user_sgpr_dispatch_id 0
		.amdhsa_user_sgpr_flat_scratch_init 0
		.amdhsa_user_sgpr_private_segment_size 0
		.amdhsa_uses_dynamic_stack 0
		.amdhsa_system_sgpr_private_segment_wavefront_offset 0
		.amdhsa_system_sgpr_workgroup_id_x 1
		.amdhsa_system_sgpr_workgroup_id_y 0
		.amdhsa_system_sgpr_workgroup_id_z 0
		.amdhsa_system_sgpr_workgroup_info 0
		.amdhsa_system_vgpr_workitem_id 0
		.amdhsa_next_free_vgpr 1
		.amdhsa_next_free_sgpr 0
		.amdhsa_reserve_vcc 0
		.amdhsa_reserve_flat_scratch 0
		.amdhsa_float_round_mode_32 0
		.amdhsa_float_round_mode_16_64 0
		.amdhsa_float_denorm_mode_32 3
		.amdhsa_float_denorm_mode_16_64 3
		.amdhsa_dx10_clamp 1
		.amdhsa_ieee_mode 1
		.amdhsa_fp16_overflow 0
		.amdhsa_exception_fp_ieee_invalid_op 0
		.amdhsa_exception_fp_denorm_src 0
		.amdhsa_exception_fp_ieee_div_zero 0
		.amdhsa_exception_fp_ieee_overflow 0
		.amdhsa_exception_fp_ieee_underflow 0
		.amdhsa_exception_fp_ieee_inexact 0
		.amdhsa_exception_int_div_zero 0
	.end_amdhsa_kernel
	.section	.text._ZN7rocprim17ROCPRIM_400000_NS6detail17trampoline_kernelINS0_14default_configENS1_27scan_by_key_config_selectorImiEEZZNS1_16scan_by_key_implILNS1_25lookback_scan_determinismE0ELb0ES3_N6thrust23THRUST_200600_302600_NS18transform_iteratorI9row_indexNS9_17counting_iteratorImNS9_11use_defaultESD_SD_EESD_SD_EENS9_6detail15normal_iteratorINS9_10device_ptrIiEEEESK_iNS9_4plusIvEENS9_8equal_toIvEEiEE10hipError_tPvRmT2_T3_T4_T5_mT6_T7_P12ihipStream_tbENKUlT_T0_E_clISt17integral_constantIbLb0EES15_EEDaS10_S11_EUlS10_E_NS1_11comp_targetILNS1_3genE5ELNS1_11target_archE942ELNS1_3gpuE9ELNS1_3repE0EEENS1_30default_config_static_selectorELNS0_4arch9wavefront6targetE1EEEvT1_,"axG",@progbits,_ZN7rocprim17ROCPRIM_400000_NS6detail17trampoline_kernelINS0_14default_configENS1_27scan_by_key_config_selectorImiEEZZNS1_16scan_by_key_implILNS1_25lookback_scan_determinismE0ELb0ES3_N6thrust23THRUST_200600_302600_NS18transform_iteratorI9row_indexNS9_17counting_iteratorImNS9_11use_defaultESD_SD_EESD_SD_EENS9_6detail15normal_iteratorINS9_10device_ptrIiEEEESK_iNS9_4plusIvEENS9_8equal_toIvEEiEE10hipError_tPvRmT2_T3_T4_T5_mT6_T7_P12ihipStream_tbENKUlT_T0_E_clISt17integral_constantIbLb0EES15_EEDaS10_S11_EUlS10_E_NS1_11comp_targetILNS1_3genE5ELNS1_11target_archE942ELNS1_3gpuE9ELNS1_3repE0EEENS1_30default_config_static_selectorELNS0_4arch9wavefront6targetE1EEEvT1_,comdat
.Lfunc_end5:
	.size	_ZN7rocprim17ROCPRIM_400000_NS6detail17trampoline_kernelINS0_14default_configENS1_27scan_by_key_config_selectorImiEEZZNS1_16scan_by_key_implILNS1_25lookback_scan_determinismE0ELb0ES3_N6thrust23THRUST_200600_302600_NS18transform_iteratorI9row_indexNS9_17counting_iteratorImNS9_11use_defaultESD_SD_EESD_SD_EENS9_6detail15normal_iteratorINS9_10device_ptrIiEEEESK_iNS9_4plusIvEENS9_8equal_toIvEEiEE10hipError_tPvRmT2_T3_T4_T5_mT6_T7_P12ihipStream_tbENKUlT_T0_E_clISt17integral_constantIbLb0EES15_EEDaS10_S11_EUlS10_E_NS1_11comp_targetILNS1_3genE5ELNS1_11target_archE942ELNS1_3gpuE9ELNS1_3repE0EEENS1_30default_config_static_selectorELNS0_4arch9wavefront6targetE1EEEvT1_, .Lfunc_end5-_ZN7rocprim17ROCPRIM_400000_NS6detail17trampoline_kernelINS0_14default_configENS1_27scan_by_key_config_selectorImiEEZZNS1_16scan_by_key_implILNS1_25lookback_scan_determinismE0ELb0ES3_N6thrust23THRUST_200600_302600_NS18transform_iteratorI9row_indexNS9_17counting_iteratorImNS9_11use_defaultESD_SD_EESD_SD_EENS9_6detail15normal_iteratorINS9_10device_ptrIiEEEESK_iNS9_4plusIvEENS9_8equal_toIvEEiEE10hipError_tPvRmT2_T3_T4_T5_mT6_T7_P12ihipStream_tbENKUlT_T0_E_clISt17integral_constantIbLb0EES15_EEDaS10_S11_EUlS10_E_NS1_11comp_targetILNS1_3genE5ELNS1_11target_archE942ELNS1_3gpuE9ELNS1_3repE0EEENS1_30default_config_static_selectorELNS0_4arch9wavefront6targetE1EEEvT1_
                                        ; -- End function
	.set _ZN7rocprim17ROCPRIM_400000_NS6detail17trampoline_kernelINS0_14default_configENS1_27scan_by_key_config_selectorImiEEZZNS1_16scan_by_key_implILNS1_25lookback_scan_determinismE0ELb0ES3_N6thrust23THRUST_200600_302600_NS18transform_iteratorI9row_indexNS9_17counting_iteratorImNS9_11use_defaultESD_SD_EESD_SD_EENS9_6detail15normal_iteratorINS9_10device_ptrIiEEEESK_iNS9_4plusIvEENS9_8equal_toIvEEiEE10hipError_tPvRmT2_T3_T4_T5_mT6_T7_P12ihipStream_tbENKUlT_T0_E_clISt17integral_constantIbLb0EES15_EEDaS10_S11_EUlS10_E_NS1_11comp_targetILNS1_3genE5ELNS1_11target_archE942ELNS1_3gpuE9ELNS1_3repE0EEENS1_30default_config_static_selectorELNS0_4arch9wavefront6targetE1EEEvT1_.num_vgpr, 0
	.set _ZN7rocprim17ROCPRIM_400000_NS6detail17trampoline_kernelINS0_14default_configENS1_27scan_by_key_config_selectorImiEEZZNS1_16scan_by_key_implILNS1_25lookback_scan_determinismE0ELb0ES3_N6thrust23THRUST_200600_302600_NS18transform_iteratorI9row_indexNS9_17counting_iteratorImNS9_11use_defaultESD_SD_EESD_SD_EENS9_6detail15normal_iteratorINS9_10device_ptrIiEEEESK_iNS9_4plusIvEENS9_8equal_toIvEEiEE10hipError_tPvRmT2_T3_T4_T5_mT6_T7_P12ihipStream_tbENKUlT_T0_E_clISt17integral_constantIbLb0EES15_EEDaS10_S11_EUlS10_E_NS1_11comp_targetILNS1_3genE5ELNS1_11target_archE942ELNS1_3gpuE9ELNS1_3repE0EEENS1_30default_config_static_selectorELNS0_4arch9wavefront6targetE1EEEvT1_.num_agpr, 0
	.set _ZN7rocprim17ROCPRIM_400000_NS6detail17trampoline_kernelINS0_14default_configENS1_27scan_by_key_config_selectorImiEEZZNS1_16scan_by_key_implILNS1_25lookback_scan_determinismE0ELb0ES3_N6thrust23THRUST_200600_302600_NS18transform_iteratorI9row_indexNS9_17counting_iteratorImNS9_11use_defaultESD_SD_EESD_SD_EENS9_6detail15normal_iteratorINS9_10device_ptrIiEEEESK_iNS9_4plusIvEENS9_8equal_toIvEEiEE10hipError_tPvRmT2_T3_T4_T5_mT6_T7_P12ihipStream_tbENKUlT_T0_E_clISt17integral_constantIbLb0EES15_EEDaS10_S11_EUlS10_E_NS1_11comp_targetILNS1_3genE5ELNS1_11target_archE942ELNS1_3gpuE9ELNS1_3repE0EEENS1_30default_config_static_selectorELNS0_4arch9wavefront6targetE1EEEvT1_.numbered_sgpr, 0
	.set _ZN7rocprim17ROCPRIM_400000_NS6detail17trampoline_kernelINS0_14default_configENS1_27scan_by_key_config_selectorImiEEZZNS1_16scan_by_key_implILNS1_25lookback_scan_determinismE0ELb0ES3_N6thrust23THRUST_200600_302600_NS18transform_iteratorI9row_indexNS9_17counting_iteratorImNS9_11use_defaultESD_SD_EESD_SD_EENS9_6detail15normal_iteratorINS9_10device_ptrIiEEEESK_iNS9_4plusIvEENS9_8equal_toIvEEiEE10hipError_tPvRmT2_T3_T4_T5_mT6_T7_P12ihipStream_tbENKUlT_T0_E_clISt17integral_constantIbLb0EES15_EEDaS10_S11_EUlS10_E_NS1_11comp_targetILNS1_3genE5ELNS1_11target_archE942ELNS1_3gpuE9ELNS1_3repE0EEENS1_30default_config_static_selectorELNS0_4arch9wavefront6targetE1EEEvT1_.num_named_barrier, 0
	.set _ZN7rocprim17ROCPRIM_400000_NS6detail17trampoline_kernelINS0_14default_configENS1_27scan_by_key_config_selectorImiEEZZNS1_16scan_by_key_implILNS1_25lookback_scan_determinismE0ELb0ES3_N6thrust23THRUST_200600_302600_NS18transform_iteratorI9row_indexNS9_17counting_iteratorImNS9_11use_defaultESD_SD_EESD_SD_EENS9_6detail15normal_iteratorINS9_10device_ptrIiEEEESK_iNS9_4plusIvEENS9_8equal_toIvEEiEE10hipError_tPvRmT2_T3_T4_T5_mT6_T7_P12ihipStream_tbENKUlT_T0_E_clISt17integral_constantIbLb0EES15_EEDaS10_S11_EUlS10_E_NS1_11comp_targetILNS1_3genE5ELNS1_11target_archE942ELNS1_3gpuE9ELNS1_3repE0EEENS1_30default_config_static_selectorELNS0_4arch9wavefront6targetE1EEEvT1_.private_seg_size, 0
	.set _ZN7rocprim17ROCPRIM_400000_NS6detail17trampoline_kernelINS0_14default_configENS1_27scan_by_key_config_selectorImiEEZZNS1_16scan_by_key_implILNS1_25lookback_scan_determinismE0ELb0ES3_N6thrust23THRUST_200600_302600_NS18transform_iteratorI9row_indexNS9_17counting_iteratorImNS9_11use_defaultESD_SD_EESD_SD_EENS9_6detail15normal_iteratorINS9_10device_ptrIiEEEESK_iNS9_4plusIvEENS9_8equal_toIvEEiEE10hipError_tPvRmT2_T3_T4_T5_mT6_T7_P12ihipStream_tbENKUlT_T0_E_clISt17integral_constantIbLb0EES15_EEDaS10_S11_EUlS10_E_NS1_11comp_targetILNS1_3genE5ELNS1_11target_archE942ELNS1_3gpuE9ELNS1_3repE0EEENS1_30default_config_static_selectorELNS0_4arch9wavefront6targetE1EEEvT1_.uses_vcc, 0
	.set _ZN7rocprim17ROCPRIM_400000_NS6detail17trampoline_kernelINS0_14default_configENS1_27scan_by_key_config_selectorImiEEZZNS1_16scan_by_key_implILNS1_25lookback_scan_determinismE0ELb0ES3_N6thrust23THRUST_200600_302600_NS18transform_iteratorI9row_indexNS9_17counting_iteratorImNS9_11use_defaultESD_SD_EESD_SD_EENS9_6detail15normal_iteratorINS9_10device_ptrIiEEEESK_iNS9_4plusIvEENS9_8equal_toIvEEiEE10hipError_tPvRmT2_T3_T4_T5_mT6_T7_P12ihipStream_tbENKUlT_T0_E_clISt17integral_constantIbLb0EES15_EEDaS10_S11_EUlS10_E_NS1_11comp_targetILNS1_3genE5ELNS1_11target_archE942ELNS1_3gpuE9ELNS1_3repE0EEENS1_30default_config_static_selectorELNS0_4arch9wavefront6targetE1EEEvT1_.uses_flat_scratch, 0
	.set _ZN7rocprim17ROCPRIM_400000_NS6detail17trampoline_kernelINS0_14default_configENS1_27scan_by_key_config_selectorImiEEZZNS1_16scan_by_key_implILNS1_25lookback_scan_determinismE0ELb0ES3_N6thrust23THRUST_200600_302600_NS18transform_iteratorI9row_indexNS9_17counting_iteratorImNS9_11use_defaultESD_SD_EESD_SD_EENS9_6detail15normal_iteratorINS9_10device_ptrIiEEEESK_iNS9_4plusIvEENS9_8equal_toIvEEiEE10hipError_tPvRmT2_T3_T4_T5_mT6_T7_P12ihipStream_tbENKUlT_T0_E_clISt17integral_constantIbLb0EES15_EEDaS10_S11_EUlS10_E_NS1_11comp_targetILNS1_3genE5ELNS1_11target_archE942ELNS1_3gpuE9ELNS1_3repE0EEENS1_30default_config_static_selectorELNS0_4arch9wavefront6targetE1EEEvT1_.has_dyn_sized_stack, 0
	.set _ZN7rocprim17ROCPRIM_400000_NS6detail17trampoline_kernelINS0_14default_configENS1_27scan_by_key_config_selectorImiEEZZNS1_16scan_by_key_implILNS1_25lookback_scan_determinismE0ELb0ES3_N6thrust23THRUST_200600_302600_NS18transform_iteratorI9row_indexNS9_17counting_iteratorImNS9_11use_defaultESD_SD_EESD_SD_EENS9_6detail15normal_iteratorINS9_10device_ptrIiEEEESK_iNS9_4plusIvEENS9_8equal_toIvEEiEE10hipError_tPvRmT2_T3_T4_T5_mT6_T7_P12ihipStream_tbENKUlT_T0_E_clISt17integral_constantIbLb0EES15_EEDaS10_S11_EUlS10_E_NS1_11comp_targetILNS1_3genE5ELNS1_11target_archE942ELNS1_3gpuE9ELNS1_3repE0EEENS1_30default_config_static_selectorELNS0_4arch9wavefront6targetE1EEEvT1_.has_recursion, 0
	.set _ZN7rocprim17ROCPRIM_400000_NS6detail17trampoline_kernelINS0_14default_configENS1_27scan_by_key_config_selectorImiEEZZNS1_16scan_by_key_implILNS1_25lookback_scan_determinismE0ELb0ES3_N6thrust23THRUST_200600_302600_NS18transform_iteratorI9row_indexNS9_17counting_iteratorImNS9_11use_defaultESD_SD_EESD_SD_EENS9_6detail15normal_iteratorINS9_10device_ptrIiEEEESK_iNS9_4plusIvEENS9_8equal_toIvEEiEE10hipError_tPvRmT2_T3_T4_T5_mT6_T7_P12ihipStream_tbENKUlT_T0_E_clISt17integral_constantIbLb0EES15_EEDaS10_S11_EUlS10_E_NS1_11comp_targetILNS1_3genE5ELNS1_11target_archE942ELNS1_3gpuE9ELNS1_3repE0EEENS1_30default_config_static_selectorELNS0_4arch9wavefront6targetE1EEEvT1_.has_indirect_call, 0
	.section	.AMDGPU.csdata,"",@progbits
; Kernel info:
; codeLenInByte = 0
; TotalNumSgprs: 4
; NumVgprs: 0
; ScratchSize: 0
; MemoryBound: 0
; FloatMode: 240
; IeeeMode: 1
; LDSByteSize: 0 bytes/workgroup (compile time only)
; SGPRBlocks: 0
; VGPRBlocks: 0
; NumSGPRsForWavesPerEU: 4
; NumVGPRsForWavesPerEU: 1
; Occupancy: 10
; WaveLimiterHint : 0
; COMPUTE_PGM_RSRC2:SCRATCH_EN: 0
; COMPUTE_PGM_RSRC2:USER_SGPR: 6
; COMPUTE_PGM_RSRC2:TRAP_HANDLER: 0
; COMPUTE_PGM_RSRC2:TGID_X_EN: 1
; COMPUTE_PGM_RSRC2:TGID_Y_EN: 0
; COMPUTE_PGM_RSRC2:TGID_Z_EN: 0
; COMPUTE_PGM_RSRC2:TIDIG_COMP_CNT: 0
	.section	.text._ZN7rocprim17ROCPRIM_400000_NS6detail17trampoline_kernelINS0_14default_configENS1_27scan_by_key_config_selectorImiEEZZNS1_16scan_by_key_implILNS1_25lookback_scan_determinismE0ELb0ES3_N6thrust23THRUST_200600_302600_NS18transform_iteratorI9row_indexNS9_17counting_iteratorImNS9_11use_defaultESD_SD_EESD_SD_EENS9_6detail15normal_iteratorINS9_10device_ptrIiEEEESK_iNS9_4plusIvEENS9_8equal_toIvEEiEE10hipError_tPvRmT2_T3_T4_T5_mT6_T7_P12ihipStream_tbENKUlT_T0_E_clISt17integral_constantIbLb0EES15_EEDaS10_S11_EUlS10_E_NS1_11comp_targetILNS1_3genE4ELNS1_11target_archE910ELNS1_3gpuE8ELNS1_3repE0EEENS1_30default_config_static_selectorELNS0_4arch9wavefront6targetE1EEEvT1_,"axG",@progbits,_ZN7rocprim17ROCPRIM_400000_NS6detail17trampoline_kernelINS0_14default_configENS1_27scan_by_key_config_selectorImiEEZZNS1_16scan_by_key_implILNS1_25lookback_scan_determinismE0ELb0ES3_N6thrust23THRUST_200600_302600_NS18transform_iteratorI9row_indexNS9_17counting_iteratorImNS9_11use_defaultESD_SD_EESD_SD_EENS9_6detail15normal_iteratorINS9_10device_ptrIiEEEESK_iNS9_4plusIvEENS9_8equal_toIvEEiEE10hipError_tPvRmT2_T3_T4_T5_mT6_T7_P12ihipStream_tbENKUlT_T0_E_clISt17integral_constantIbLb0EES15_EEDaS10_S11_EUlS10_E_NS1_11comp_targetILNS1_3genE4ELNS1_11target_archE910ELNS1_3gpuE8ELNS1_3repE0EEENS1_30default_config_static_selectorELNS0_4arch9wavefront6targetE1EEEvT1_,comdat
	.protected	_ZN7rocprim17ROCPRIM_400000_NS6detail17trampoline_kernelINS0_14default_configENS1_27scan_by_key_config_selectorImiEEZZNS1_16scan_by_key_implILNS1_25lookback_scan_determinismE0ELb0ES3_N6thrust23THRUST_200600_302600_NS18transform_iteratorI9row_indexNS9_17counting_iteratorImNS9_11use_defaultESD_SD_EESD_SD_EENS9_6detail15normal_iteratorINS9_10device_ptrIiEEEESK_iNS9_4plusIvEENS9_8equal_toIvEEiEE10hipError_tPvRmT2_T3_T4_T5_mT6_T7_P12ihipStream_tbENKUlT_T0_E_clISt17integral_constantIbLb0EES15_EEDaS10_S11_EUlS10_E_NS1_11comp_targetILNS1_3genE4ELNS1_11target_archE910ELNS1_3gpuE8ELNS1_3repE0EEENS1_30default_config_static_selectorELNS0_4arch9wavefront6targetE1EEEvT1_ ; -- Begin function _ZN7rocprim17ROCPRIM_400000_NS6detail17trampoline_kernelINS0_14default_configENS1_27scan_by_key_config_selectorImiEEZZNS1_16scan_by_key_implILNS1_25lookback_scan_determinismE0ELb0ES3_N6thrust23THRUST_200600_302600_NS18transform_iteratorI9row_indexNS9_17counting_iteratorImNS9_11use_defaultESD_SD_EESD_SD_EENS9_6detail15normal_iteratorINS9_10device_ptrIiEEEESK_iNS9_4plusIvEENS9_8equal_toIvEEiEE10hipError_tPvRmT2_T3_T4_T5_mT6_T7_P12ihipStream_tbENKUlT_T0_E_clISt17integral_constantIbLb0EES15_EEDaS10_S11_EUlS10_E_NS1_11comp_targetILNS1_3genE4ELNS1_11target_archE910ELNS1_3gpuE8ELNS1_3repE0EEENS1_30default_config_static_selectorELNS0_4arch9wavefront6targetE1EEEvT1_
	.globl	_ZN7rocprim17ROCPRIM_400000_NS6detail17trampoline_kernelINS0_14default_configENS1_27scan_by_key_config_selectorImiEEZZNS1_16scan_by_key_implILNS1_25lookback_scan_determinismE0ELb0ES3_N6thrust23THRUST_200600_302600_NS18transform_iteratorI9row_indexNS9_17counting_iteratorImNS9_11use_defaultESD_SD_EESD_SD_EENS9_6detail15normal_iteratorINS9_10device_ptrIiEEEESK_iNS9_4plusIvEENS9_8equal_toIvEEiEE10hipError_tPvRmT2_T3_T4_T5_mT6_T7_P12ihipStream_tbENKUlT_T0_E_clISt17integral_constantIbLb0EES15_EEDaS10_S11_EUlS10_E_NS1_11comp_targetILNS1_3genE4ELNS1_11target_archE910ELNS1_3gpuE8ELNS1_3repE0EEENS1_30default_config_static_selectorELNS0_4arch9wavefront6targetE1EEEvT1_
	.p2align	8
	.type	_ZN7rocprim17ROCPRIM_400000_NS6detail17trampoline_kernelINS0_14default_configENS1_27scan_by_key_config_selectorImiEEZZNS1_16scan_by_key_implILNS1_25lookback_scan_determinismE0ELb0ES3_N6thrust23THRUST_200600_302600_NS18transform_iteratorI9row_indexNS9_17counting_iteratorImNS9_11use_defaultESD_SD_EESD_SD_EENS9_6detail15normal_iteratorINS9_10device_ptrIiEEEESK_iNS9_4plusIvEENS9_8equal_toIvEEiEE10hipError_tPvRmT2_T3_T4_T5_mT6_T7_P12ihipStream_tbENKUlT_T0_E_clISt17integral_constantIbLb0EES15_EEDaS10_S11_EUlS10_E_NS1_11comp_targetILNS1_3genE4ELNS1_11target_archE910ELNS1_3gpuE8ELNS1_3repE0EEENS1_30default_config_static_selectorELNS0_4arch9wavefront6targetE1EEEvT1_,@function
_ZN7rocprim17ROCPRIM_400000_NS6detail17trampoline_kernelINS0_14default_configENS1_27scan_by_key_config_selectorImiEEZZNS1_16scan_by_key_implILNS1_25lookback_scan_determinismE0ELb0ES3_N6thrust23THRUST_200600_302600_NS18transform_iteratorI9row_indexNS9_17counting_iteratorImNS9_11use_defaultESD_SD_EESD_SD_EENS9_6detail15normal_iteratorINS9_10device_ptrIiEEEESK_iNS9_4plusIvEENS9_8equal_toIvEEiEE10hipError_tPvRmT2_T3_T4_T5_mT6_T7_P12ihipStream_tbENKUlT_T0_E_clISt17integral_constantIbLb0EES15_EEDaS10_S11_EUlS10_E_NS1_11comp_targetILNS1_3genE4ELNS1_11target_archE910ELNS1_3gpuE8ELNS1_3repE0EEENS1_30default_config_static_selectorELNS0_4arch9wavefront6targetE1EEEvT1_: ; @_ZN7rocprim17ROCPRIM_400000_NS6detail17trampoline_kernelINS0_14default_configENS1_27scan_by_key_config_selectorImiEEZZNS1_16scan_by_key_implILNS1_25lookback_scan_determinismE0ELb0ES3_N6thrust23THRUST_200600_302600_NS18transform_iteratorI9row_indexNS9_17counting_iteratorImNS9_11use_defaultESD_SD_EESD_SD_EENS9_6detail15normal_iteratorINS9_10device_ptrIiEEEESK_iNS9_4plusIvEENS9_8equal_toIvEEiEE10hipError_tPvRmT2_T3_T4_T5_mT6_T7_P12ihipStream_tbENKUlT_T0_E_clISt17integral_constantIbLb0EES15_EEDaS10_S11_EUlS10_E_NS1_11comp_targetILNS1_3genE4ELNS1_11target_archE910ELNS1_3gpuE8ELNS1_3repE0EEENS1_30default_config_static_selectorELNS0_4arch9wavefront6targetE1EEEvT1_
; %bb.0:
	.section	.rodata,"a",@progbits
	.p2align	6, 0x0
	.amdhsa_kernel _ZN7rocprim17ROCPRIM_400000_NS6detail17trampoline_kernelINS0_14default_configENS1_27scan_by_key_config_selectorImiEEZZNS1_16scan_by_key_implILNS1_25lookback_scan_determinismE0ELb0ES3_N6thrust23THRUST_200600_302600_NS18transform_iteratorI9row_indexNS9_17counting_iteratorImNS9_11use_defaultESD_SD_EESD_SD_EENS9_6detail15normal_iteratorINS9_10device_ptrIiEEEESK_iNS9_4plusIvEENS9_8equal_toIvEEiEE10hipError_tPvRmT2_T3_T4_T5_mT6_T7_P12ihipStream_tbENKUlT_T0_E_clISt17integral_constantIbLb0EES15_EEDaS10_S11_EUlS10_E_NS1_11comp_targetILNS1_3genE4ELNS1_11target_archE910ELNS1_3gpuE8ELNS1_3repE0EEENS1_30default_config_static_selectorELNS0_4arch9wavefront6targetE1EEEvT1_
		.amdhsa_group_segment_fixed_size 0
		.amdhsa_private_segment_fixed_size 0
		.amdhsa_kernarg_size 120
		.amdhsa_user_sgpr_count 6
		.amdhsa_user_sgpr_private_segment_buffer 1
		.amdhsa_user_sgpr_dispatch_ptr 0
		.amdhsa_user_sgpr_queue_ptr 0
		.amdhsa_user_sgpr_kernarg_segment_ptr 1
		.amdhsa_user_sgpr_dispatch_id 0
		.amdhsa_user_sgpr_flat_scratch_init 0
		.amdhsa_user_sgpr_private_segment_size 0
		.amdhsa_uses_dynamic_stack 0
		.amdhsa_system_sgpr_private_segment_wavefront_offset 0
		.amdhsa_system_sgpr_workgroup_id_x 1
		.amdhsa_system_sgpr_workgroup_id_y 0
		.amdhsa_system_sgpr_workgroup_id_z 0
		.amdhsa_system_sgpr_workgroup_info 0
		.amdhsa_system_vgpr_workitem_id 0
		.amdhsa_next_free_vgpr 1
		.amdhsa_next_free_sgpr 0
		.amdhsa_reserve_vcc 0
		.amdhsa_reserve_flat_scratch 0
		.amdhsa_float_round_mode_32 0
		.amdhsa_float_round_mode_16_64 0
		.amdhsa_float_denorm_mode_32 3
		.amdhsa_float_denorm_mode_16_64 3
		.amdhsa_dx10_clamp 1
		.amdhsa_ieee_mode 1
		.amdhsa_fp16_overflow 0
		.amdhsa_exception_fp_ieee_invalid_op 0
		.amdhsa_exception_fp_denorm_src 0
		.amdhsa_exception_fp_ieee_div_zero 0
		.amdhsa_exception_fp_ieee_overflow 0
		.amdhsa_exception_fp_ieee_underflow 0
		.amdhsa_exception_fp_ieee_inexact 0
		.amdhsa_exception_int_div_zero 0
	.end_amdhsa_kernel
	.section	.text._ZN7rocprim17ROCPRIM_400000_NS6detail17trampoline_kernelINS0_14default_configENS1_27scan_by_key_config_selectorImiEEZZNS1_16scan_by_key_implILNS1_25lookback_scan_determinismE0ELb0ES3_N6thrust23THRUST_200600_302600_NS18transform_iteratorI9row_indexNS9_17counting_iteratorImNS9_11use_defaultESD_SD_EESD_SD_EENS9_6detail15normal_iteratorINS9_10device_ptrIiEEEESK_iNS9_4plusIvEENS9_8equal_toIvEEiEE10hipError_tPvRmT2_T3_T4_T5_mT6_T7_P12ihipStream_tbENKUlT_T0_E_clISt17integral_constantIbLb0EES15_EEDaS10_S11_EUlS10_E_NS1_11comp_targetILNS1_3genE4ELNS1_11target_archE910ELNS1_3gpuE8ELNS1_3repE0EEENS1_30default_config_static_selectorELNS0_4arch9wavefront6targetE1EEEvT1_,"axG",@progbits,_ZN7rocprim17ROCPRIM_400000_NS6detail17trampoline_kernelINS0_14default_configENS1_27scan_by_key_config_selectorImiEEZZNS1_16scan_by_key_implILNS1_25lookback_scan_determinismE0ELb0ES3_N6thrust23THRUST_200600_302600_NS18transform_iteratorI9row_indexNS9_17counting_iteratorImNS9_11use_defaultESD_SD_EESD_SD_EENS9_6detail15normal_iteratorINS9_10device_ptrIiEEEESK_iNS9_4plusIvEENS9_8equal_toIvEEiEE10hipError_tPvRmT2_T3_T4_T5_mT6_T7_P12ihipStream_tbENKUlT_T0_E_clISt17integral_constantIbLb0EES15_EEDaS10_S11_EUlS10_E_NS1_11comp_targetILNS1_3genE4ELNS1_11target_archE910ELNS1_3gpuE8ELNS1_3repE0EEENS1_30default_config_static_selectorELNS0_4arch9wavefront6targetE1EEEvT1_,comdat
.Lfunc_end6:
	.size	_ZN7rocprim17ROCPRIM_400000_NS6detail17trampoline_kernelINS0_14default_configENS1_27scan_by_key_config_selectorImiEEZZNS1_16scan_by_key_implILNS1_25lookback_scan_determinismE0ELb0ES3_N6thrust23THRUST_200600_302600_NS18transform_iteratorI9row_indexNS9_17counting_iteratorImNS9_11use_defaultESD_SD_EESD_SD_EENS9_6detail15normal_iteratorINS9_10device_ptrIiEEEESK_iNS9_4plusIvEENS9_8equal_toIvEEiEE10hipError_tPvRmT2_T3_T4_T5_mT6_T7_P12ihipStream_tbENKUlT_T0_E_clISt17integral_constantIbLb0EES15_EEDaS10_S11_EUlS10_E_NS1_11comp_targetILNS1_3genE4ELNS1_11target_archE910ELNS1_3gpuE8ELNS1_3repE0EEENS1_30default_config_static_selectorELNS0_4arch9wavefront6targetE1EEEvT1_, .Lfunc_end6-_ZN7rocprim17ROCPRIM_400000_NS6detail17trampoline_kernelINS0_14default_configENS1_27scan_by_key_config_selectorImiEEZZNS1_16scan_by_key_implILNS1_25lookback_scan_determinismE0ELb0ES3_N6thrust23THRUST_200600_302600_NS18transform_iteratorI9row_indexNS9_17counting_iteratorImNS9_11use_defaultESD_SD_EESD_SD_EENS9_6detail15normal_iteratorINS9_10device_ptrIiEEEESK_iNS9_4plusIvEENS9_8equal_toIvEEiEE10hipError_tPvRmT2_T3_T4_T5_mT6_T7_P12ihipStream_tbENKUlT_T0_E_clISt17integral_constantIbLb0EES15_EEDaS10_S11_EUlS10_E_NS1_11comp_targetILNS1_3genE4ELNS1_11target_archE910ELNS1_3gpuE8ELNS1_3repE0EEENS1_30default_config_static_selectorELNS0_4arch9wavefront6targetE1EEEvT1_
                                        ; -- End function
	.set _ZN7rocprim17ROCPRIM_400000_NS6detail17trampoline_kernelINS0_14default_configENS1_27scan_by_key_config_selectorImiEEZZNS1_16scan_by_key_implILNS1_25lookback_scan_determinismE0ELb0ES3_N6thrust23THRUST_200600_302600_NS18transform_iteratorI9row_indexNS9_17counting_iteratorImNS9_11use_defaultESD_SD_EESD_SD_EENS9_6detail15normal_iteratorINS9_10device_ptrIiEEEESK_iNS9_4plusIvEENS9_8equal_toIvEEiEE10hipError_tPvRmT2_T3_T4_T5_mT6_T7_P12ihipStream_tbENKUlT_T0_E_clISt17integral_constantIbLb0EES15_EEDaS10_S11_EUlS10_E_NS1_11comp_targetILNS1_3genE4ELNS1_11target_archE910ELNS1_3gpuE8ELNS1_3repE0EEENS1_30default_config_static_selectorELNS0_4arch9wavefront6targetE1EEEvT1_.num_vgpr, 0
	.set _ZN7rocprim17ROCPRIM_400000_NS6detail17trampoline_kernelINS0_14default_configENS1_27scan_by_key_config_selectorImiEEZZNS1_16scan_by_key_implILNS1_25lookback_scan_determinismE0ELb0ES3_N6thrust23THRUST_200600_302600_NS18transform_iteratorI9row_indexNS9_17counting_iteratorImNS9_11use_defaultESD_SD_EESD_SD_EENS9_6detail15normal_iteratorINS9_10device_ptrIiEEEESK_iNS9_4plusIvEENS9_8equal_toIvEEiEE10hipError_tPvRmT2_T3_T4_T5_mT6_T7_P12ihipStream_tbENKUlT_T0_E_clISt17integral_constantIbLb0EES15_EEDaS10_S11_EUlS10_E_NS1_11comp_targetILNS1_3genE4ELNS1_11target_archE910ELNS1_3gpuE8ELNS1_3repE0EEENS1_30default_config_static_selectorELNS0_4arch9wavefront6targetE1EEEvT1_.num_agpr, 0
	.set _ZN7rocprim17ROCPRIM_400000_NS6detail17trampoline_kernelINS0_14default_configENS1_27scan_by_key_config_selectorImiEEZZNS1_16scan_by_key_implILNS1_25lookback_scan_determinismE0ELb0ES3_N6thrust23THRUST_200600_302600_NS18transform_iteratorI9row_indexNS9_17counting_iteratorImNS9_11use_defaultESD_SD_EESD_SD_EENS9_6detail15normal_iteratorINS9_10device_ptrIiEEEESK_iNS9_4plusIvEENS9_8equal_toIvEEiEE10hipError_tPvRmT2_T3_T4_T5_mT6_T7_P12ihipStream_tbENKUlT_T0_E_clISt17integral_constantIbLb0EES15_EEDaS10_S11_EUlS10_E_NS1_11comp_targetILNS1_3genE4ELNS1_11target_archE910ELNS1_3gpuE8ELNS1_3repE0EEENS1_30default_config_static_selectorELNS0_4arch9wavefront6targetE1EEEvT1_.numbered_sgpr, 0
	.set _ZN7rocprim17ROCPRIM_400000_NS6detail17trampoline_kernelINS0_14default_configENS1_27scan_by_key_config_selectorImiEEZZNS1_16scan_by_key_implILNS1_25lookback_scan_determinismE0ELb0ES3_N6thrust23THRUST_200600_302600_NS18transform_iteratorI9row_indexNS9_17counting_iteratorImNS9_11use_defaultESD_SD_EESD_SD_EENS9_6detail15normal_iteratorINS9_10device_ptrIiEEEESK_iNS9_4plusIvEENS9_8equal_toIvEEiEE10hipError_tPvRmT2_T3_T4_T5_mT6_T7_P12ihipStream_tbENKUlT_T0_E_clISt17integral_constantIbLb0EES15_EEDaS10_S11_EUlS10_E_NS1_11comp_targetILNS1_3genE4ELNS1_11target_archE910ELNS1_3gpuE8ELNS1_3repE0EEENS1_30default_config_static_selectorELNS0_4arch9wavefront6targetE1EEEvT1_.num_named_barrier, 0
	.set _ZN7rocprim17ROCPRIM_400000_NS6detail17trampoline_kernelINS0_14default_configENS1_27scan_by_key_config_selectorImiEEZZNS1_16scan_by_key_implILNS1_25lookback_scan_determinismE0ELb0ES3_N6thrust23THRUST_200600_302600_NS18transform_iteratorI9row_indexNS9_17counting_iteratorImNS9_11use_defaultESD_SD_EESD_SD_EENS9_6detail15normal_iteratorINS9_10device_ptrIiEEEESK_iNS9_4plusIvEENS9_8equal_toIvEEiEE10hipError_tPvRmT2_T3_T4_T5_mT6_T7_P12ihipStream_tbENKUlT_T0_E_clISt17integral_constantIbLb0EES15_EEDaS10_S11_EUlS10_E_NS1_11comp_targetILNS1_3genE4ELNS1_11target_archE910ELNS1_3gpuE8ELNS1_3repE0EEENS1_30default_config_static_selectorELNS0_4arch9wavefront6targetE1EEEvT1_.private_seg_size, 0
	.set _ZN7rocprim17ROCPRIM_400000_NS6detail17trampoline_kernelINS0_14default_configENS1_27scan_by_key_config_selectorImiEEZZNS1_16scan_by_key_implILNS1_25lookback_scan_determinismE0ELb0ES3_N6thrust23THRUST_200600_302600_NS18transform_iteratorI9row_indexNS9_17counting_iteratorImNS9_11use_defaultESD_SD_EESD_SD_EENS9_6detail15normal_iteratorINS9_10device_ptrIiEEEESK_iNS9_4plusIvEENS9_8equal_toIvEEiEE10hipError_tPvRmT2_T3_T4_T5_mT6_T7_P12ihipStream_tbENKUlT_T0_E_clISt17integral_constantIbLb0EES15_EEDaS10_S11_EUlS10_E_NS1_11comp_targetILNS1_3genE4ELNS1_11target_archE910ELNS1_3gpuE8ELNS1_3repE0EEENS1_30default_config_static_selectorELNS0_4arch9wavefront6targetE1EEEvT1_.uses_vcc, 0
	.set _ZN7rocprim17ROCPRIM_400000_NS6detail17trampoline_kernelINS0_14default_configENS1_27scan_by_key_config_selectorImiEEZZNS1_16scan_by_key_implILNS1_25lookback_scan_determinismE0ELb0ES3_N6thrust23THRUST_200600_302600_NS18transform_iteratorI9row_indexNS9_17counting_iteratorImNS9_11use_defaultESD_SD_EESD_SD_EENS9_6detail15normal_iteratorINS9_10device_ptrIiEEEESK_iNS9_4plusIvEENS9_8equal_toIvEEiEE10hipError_tPvRmT2_T3_T4_T5_mT6_T7_P12ihipStream_tbENKUlT_T0_E_clISt17integral_constantIbLb0EES15_EEDaS10_S11_EUlS10_E_NS1_11comp_targetILNS1_3genE4ELNS1_11target_archE910ELNS1_3gpuE8ELNS1_3repE0EEENS1_30default_config_static_selectorELNS0_4arch9wavefront6targetE1EEEvT1_.uses_flat_scratch, 0
	.set _ZN7rocprim17ROCPRIM_400000_NS6detail17trampoline_kernelINS0_14default_configENS1_27scan_by_key_config_selectorImiEEZZNS1_16scan_by_key_implILNS1_25lookback_scan_determinismE0ELb0ES3_N6thrust23THRUST_200600_302600_NS18transform_iteratorI9row_indexNS9_17counting_iteratorImNS9_11use_defaultESD_SD_EESD_SD_EENS9_6detail15normal_iteratorINS9_10device_ptrIiEEEESK_iNS9_4plusIvEENS9_8equal_toIvEEiEE10hipError_tPvRmT2_T3_T4_T5_mT6_T7_P12ihipStream_tbENKUlT_T0_E_clISt17integral_constantIbLb0EES15_EEDaS10_S11_EUlS10_E_NS1_11comp_targetILNS1_3genE4ELNS1_11target_archE910ELNS1_3gpuE8ELNS1_3repE0EEENS1_30default_config_static_selectorELNS0_4arch9wavefront6targetE1EEEvT1_.has_dyn_sized_stack, 0
	.set _ZN7rocprim17ROCPRIM_400000_NS6detail17trampoline_kernelINS0_14default_configENS1_27scan_by_key_config_selectorImiEEZZNS1_16scan_by_key_implILNS1_25lookback_scan_determinismE0ELb0ES3_N6thrust23THRUST_200600_302600_NS18transform_iteratorI9row_indexNS9_17counting_iteratorImNS9_11use_defaultESD_SD_EESD_SD_EENS9_6detail15normal_iteratorINS9_10device_ptrIiEEEESK_iNS9_4plusIvEENS9_8equal_toIvEEiEE10hipError_tPvRmT2_T3_T4_T5_mT6_T7_P12ihipStream_tbENKUlT_T0_E_clISt17integral_constantIbLb0EES15_EEDaS10_S11_EUlS10_E_NS1_11comp_targetILNS1_3genE4ELNS1_11target_archE910ELNS1_3gpuE8ELNS1_3repE0EEENS1_30default_config_static_selectorELNS0_4arch9wavefront6targetE1EEEvT1_.has_recursion, 0
	.set _ZN7rocprim17ROCPRIM_400000_NS6detail17trampoline_kernelINS0_14default_configENS1_27scan_by_key_config_selectorImiEEZZNS1_16scan_by_key_implILNS1_25lookback_scan_determinismE0ELb0ES3_N6thrust23THRUST_200600_302600_NS18transform_iteratorI9row_indexNS9_17counting_iteratorImNS9_11use_defaultESD_SD_EESD_SD_EENS9_6detail15normal_iteratorINS9_10device_ptrIiEEEESK_iNS9_4plusIvEENS9_8equal_toIvEEiEE10hipError_tPvRmT2_T3_T4_T5_mT6_T7_P12ihipStream_tbENKUlT_T0_E_clISt17integral_constantIbLb0EES15_EEDaS10_S11_EUlS10_E_NS1_11comp_targetILNS1_3genE4ELNS1_11target_archE910ELNS1_3gpuE8ELNS1_3repE0EEENS1_30default_config_static_selectorELNS0_4arch9wavefront6targetE1EEEvT1_.has_indirect_call, 0
	.section	.AMDGPU.csdata,"",@progbits
; Kernel info:
; codeLenInByte = 0
; TotalNumSgprs: 4
; NumVgprs: 0
; ScratchSize: 0
; MemoryBound: 0
; FloatMode: 240
; IeeeMode: 1
; LDSByteSize: 0 bytes/workgroup (compile time only)
; SGPRBlocks: 0
; VGPRBlocks: 0
; NumSGPRsForWavesPerEU: 4
; NumVGPRsForWavesPerEU: 1
; Occupancy: 10
; WaveLimiterHint : 0
; COMPUTE_PGM_RSRC2:SCRATCH_EN: 0
; COMPUTE_PGM_RSRC2:USER_SGPR: 6
; COMPUTE_PGM_RSRC2:TRAP_HANDLER: 0
; COMPUTE_PGM_RSRC2:TGID_X_EN: 1
; COMPUTE_PGM_RSRC2:TGID_Y_EN: 0
; COMPUTE_PGM_RSRC2:TGID_Z_EN: 0
; COMPUTE_PGM_RSRC2:TIDIG_COMP_CNT: 0
	.section	.text._ZN7rocprim17ROCPRIM_400000_NS6detail17trampoline_kernelINS0_14default_configENS1_27scan_by_key_config_selectorImiEEZZNS1_16scan_by_key_implILNS1_25lookback_scan_determinismE0ELb0ES3_N6thrust23THRUST_200600_302600_NS18transform_iteratorI9row_indexNS9_17counting_iteratorImNS9_11use_defaultESD_SD_EESD_SD_EENS9_6detail15normal_iteratorINS9_10device_ptrIiEEEESK_iNS9_4plusIvEENS9_8equal_toIvEEiEE10hipError_tPvRmT2_T3_T4_T5_mT6_T7_P12ihipStream_tbENKUlT_T0_E_clISt17integral_constantIbLb0EES15_EEDaS10_S11_EUlS10_E_NS1_11comp_targetILNS1_3genE3ELNS1_11target_archE908ELNS1_3gpuE7ELNS1_3repE0EEENS1_30default_config_static_selectorELNS0_4arch9wavefront6targetE1EEEvT1_,"axG",@progbits,_ZN7rocprim17ROCPRIM_400000_NS6detail17trampoline_kernelINS0_14default_configENS1_27scan_by_key_config_selectorImiEEZZNS1_16scan_by_key_implILNS1_25lookback_scan_determinismE0ELb0ES3_N6thrust23THRUST_200600_302600_NS18transform_iteratorI9row_indexNS9_17counting_iteratorImNS9_11use_defaultESD_SD_EESD_SD_EENS9_6detail15normal_iteratorINS9_10device_ptrIiEEEESK_iNS9_4plusIvEENS9_8equal_toIvEEiEE10hipError_tPvRmT2_T3_T4_T5_mT6_T7_P12ihipStream_tbENKUlT_T0_E_clISt17integral_constantIbLb0EES15_EEDaS10_S11_EUlS10_E_NS1_11comp_targetILNS1_3genE3ELNS1_11target_archE908ELNS1_3gpuE7ELNS1_3repE0EEENS1_30default_config_static_selectorELNS0_4arch9wavefront6targetE1EEEvT1_,comdat
	.protected	_ZN7rocprim17ROCPRIM_400000_NS6detail17trampoline_kernelINS0_14default_configENS1_27scan_by_key_config_selectorImiEEZZNS1_16scan_by_key_implILNS1_25lookback_scan_determinismE0ELb0ES3_N6thrust23THRUST_200600_302600_NS18transform_iteratorI9row_indexNS9_17counting_iteratorImNS9_11use_defaultESD_SD_EESD_SD_EENS9_6detail15normal_iteratorINS9_10device_ptrIiEEEESK_iNS9_4plusIvEENS9_8equal_toIvEEiEE10hipError_tPvRmT2_T3_T4_T5_mT6_T7_P12ihipStream_tbENKUlT_T0_E_clISt17integral_constantIbLb0EES15_EEDaS10_S11_EUlS10_E_NS1_11comp_targetILNS1_3genE3ELNS1_11target_archE908ELNS1_3gpuE7ELNS1_3repE0EEENS1_30default_config_static_selectorELNS0_4arch9wavefront6targetE1EEEvT1_ ; -- Begin function _ZN7rocprim17ROCPRIM_400000_NS6detail17trampoline_kernelINS0_14default_configENS1_27scan_by_key_config_selectorImiEEZZNS1_16scan_by_key_implILNS1_25lookback_scan_determinismE0ELb0ES3_N6thrust23THRUST_200600_302600_NS18transform_iteratorI9row_indexNS9_17counting_iteratorImNS9_11use_defaultESD_SD_EESD_SD_EENS9_6detail15normal_iteratorINS9_10device_ptrIiEEEESK_iNS9_4plusIvEENS9_8equal_toIvEEiEE10hipError_tPvRmT2_T3_T4_T5_mT6_T7_P12ihipStream_tbENKUlT_T0_E_clISt17integral_constantIbLb0EES15_EEDaS10_S11_EUlS10_E_NS1_11comp_targetILNS1_3genE3ELNS1_11target_archE908ELNS1_3gpuE7ELNS1_3repE0EEENS1_30default_config_static_selectorELNS0_4arch9wavefront6targetE1EEEvT1_
	.globl	_ZN7rocprim17ROCPRIM_400000_NS6detail17trampoline_kernelINS0_14default_configENS1_27scan_by_key_config_selectorImiEEZZNS1_16scan_by_key_implILNS1_25lookback_scan_determinismE0ELb0ES3_N6thrust23THRUST_200600_302600_NS18transform_iteratorI9row_indexNS9_17counting_iteratorImNS9_11use_defaultESD_SD_EESD_SD_EENS9_6detail15normal_iteratorINS9_10device_ptrIiEEEESK_iNS9_4plusIvEENS9_8equal_toIvEEiEE10hipError_tPvRmT2_T3_T4_T5_mT6_T7_P12ihipStream_tbENKUlT_T0_E_clISt17integral_constantIbLb0EES15_EEDaS10_S11_EUlS10_E_NS1_11comp_targetILNS1_3genE3ELNS1_11target_archE908ELNS1_3gpuE7ELNS1_3repE0EEENS1_30default_config_static_selectorELNS0_4arch9wavefront6targetE1EEEvT1_
	.p2align	8
	.type	_ZN7rocprim17ROCPRIM_400000_NS6detail17trampoline_kernelINS0_14default_configENS1_27scan_by_key_config_selectorImiEEZZNS1_16scan_by_key_implILNS1_25lookback_scan_determinismE0ELb0ES3_N6thrust23THRUST_200600_302600_NS18transform_iteratorI9row_indexNS9_17counting_iteratorImNS9_11use_defaultESD_SD_EESD_SD_EENS9_6detail15normal_iteratorINS9_10device_ptrIiEEEESK_iNS9_4plusIvEENS9_8equal_toIvEEiEE10hipError_tPvRmT2_T3_T4_T5_mT6_T7_P12ihipStream_tbENKUlT_T0_E_clISt17integral_constantIbLb0EES15_EEDaS10_S11_EUlS10_E_NS1_11comp_targetILNS1_3genE3ELNS1_11target_archE908ELNS1_3gpuE7ELNS1_3repE0EEENS1_30default_config_static_selectorELNS0_4arch9wavefront6targetE1EEEvT1_,@function
_ZN7rocprim17ROCPRIM_400000_NS6detail17trampoline_kernelINS0_14default_configENS1_27scan_by_key_config_selectorImiEEZZNS1_16scan_by_key_implILNS1_25lookback_scan_determinismE0ELb0ES3_N6thrust23THRUST_200600_302600_NS18transform_iteratorI9row_indexNS9_17counting_iteratorImNS9_11use_defaultESD_SD_EESD_SD_EENS9_6detail15normal_iteratorINS9_10device_ptrIiEEEESK_iNS9_4plusIvEENS9_8equal_toIvEEiEE10hipError_tPvRmT2_T3_T4_T5_mT6_T7_P12ihipStream_tbENKUlT_T0_E_clISt17integral_constantIbLb0EES15_EEDaS10_S11_EUlS10_E_NS1_11comp_targetILNS1_3genE3ELNS1_11target_archE908ELNS1_3gpuE7ELNS1_3repE0EEENS1_30default_config_static_selectorELNS0_4arch9wavefront6targetE1EEEvT1_: ; @_ZN7rocprim17ROCPRIM_400000_NS6detail17trampoline_kernelINS0_14default_configENS1_27scan_by_key_config_selectorImiEEZZNS1_16scan_by_key_implILNS1_25lookback_scan_determinismE0ELb0ES3_N6thrust23THRUST_200600_302600_NS18transform_iteratorI9row_indexNS9_17counting_iteratorImNS9_11use_defaultESD_SD_EESD_SD_EENS9_6detail15normal_iteratorINS9_10device_ptrIiEEEESK_iNS9_4plusIvEENS9_8equal_toIvEEiEE10hipError_tPvRmT2_T3_T4_T5_mT6_T7_P12ihipStream_tbENKUlT_T0_E_clISt17integral_constantIbLb0EES15_EEDaS10_S11_EUlS10_E_NS1_11comp_targetILNS1_3genE3ELNS1_11target_archE908ELNS1_3gpuE7ELNS1_3repE0EEENS1_30default_config_static_selectorELNS0_4arch9wavefront6targetE1EEEvT1_
; %bb.0:
	.section	.rodata,"a",@progbits
	.p2align	6, 0x0
	.amdhsa_kernel _ZN7rocprim17ROCPRIM_400000_NS6detail17trampoline_kernelINS0_14default_configENS1_27scan_by_key_config_selectorImiEEZZNS1_16scan_by_key_implILNS1_25lookback_scan_determinismE0ELb0ES3_N6thrust23THRUST_200600_302600_NS18transform_iteratorI9row_indexNS9_17counting_iteratorImNS9_11use_defaultESD_SD_EESD_SD_EENS9_6detail15normal_iteratorINS9_10device_ptrIiEEEESK_iNS9_4plusIvEENS9_8equal_toIvEEiEE10hipError_tPvRmT2_T3_T4_T5_mT6_T7_P12ihipStream_tbENKUlT_T0_E_clISt17integral_constantIbLb0EES15_EEDaS10_S11_EUlS10_E_NS1_11comp_targetILNS1_3genE3ELNS1_11target_archE908ELNS1_3gpuE7ELNS1_3repE0EEENS1_30default_config_static_selectorELNS0_4arch9wavefront6targetE1EEEvT1_
		.amdhsa_group_segment_fixed_size 0
		.amdhsa_private_segment_fixed_size 0
		.amdhsa_kernarg_size 120
		.amdhsa_user_sgpr_count 6
		.amdhsa_user_sgpr_private_segment_buffer 1
		.amdhsa_user_sgpr_dispatch_ptr 0
		.amdhsa_user_sgpr_queue_ptr 0
		.amdhsa_user_sgpr_kernarg_segment_ptr 1
		.amdhsa_user_sgpr_dispatch_id 0
		.amdhsa_user_sgpr_flat_scratch_init 0
		.amdhsa_user_sgpr_private_segment_size 0
		.amdhsa_uses_dynamic_stack 0
		.amdhsa_system_sgpr_private_segment_wavefront_offset 0
		.amdhsa_system_sgpr_workgroup_id_x 1
		.amdhsa_system_sgpr_workgroup_id_y 0
		.amdhsa_system_sgpr_workgroup_id_z 0
		.amdhsa_system_sgpr_workgroup_info 0
		.amdhsa_system_vgpr_workitem_id 0
		.amdhsa_next_free_vgpr 1
		.amdhsa_next_free_sgpr 0
		.amdhsa_reserve_vcc 0
		.amdhsa_reserve_flat_scratch 0
		.amdhsa_float_round_mode_32 0
		.amdhsa_float_round_mode_16_64 0
		.amdhsa_float_denorm_mode_32 3
		.amdhsa_float_denorm_mode_16_64 3
		.amdhsa_dx10_clamp 1
		.amdhsa_ieee_mode 1
		.amdhsa_fp16_overflow 0
		.amdhsa_exception_fp_ieee_invalid_op 0
		.amdhsa_exception_fp_denorm_src 0
		.amdhsa_exception_fp_ieee_div_zero 0
		.amdhsa_exception_fp_ieee_overflow 0
		.amdhsa_exception_fp_ieee_underflow 0
		.amdhsa_exception_fp_ieee_inexact 0
		.amdhsa_exception_int_div_zero 0
	.end_amdhsa_kernel
	.section	.text._ZN7rocprim17ROCPRIM_400000_NS6detail17trampoline_kernelINS0_14default_configENS1_27scan_by_key_config_selectorImiEEZZNS1_16scan_by_key_implILNS1_25lookback_scan_determinismE0ELb0ES3_N6thrust23THRUST_200600_302600_NS18transform_iteratorI9row_indexNS9_17counting_iteratorImNS9_11use_defaultESD_SD_EESD_SD_EENS9_6detail15normal_iteratorINS9_10device_ptrIiEEEESK_iNS9_4plusIvEENS9_8equal_toIvEEiEE10hipError_tPvRmT2_T3_T4_T5_mT6_T7_P12ihipStream_tbENKUlT_T0_E_clISt17integral_constantIbLb0EES15_EEDaS10_S11_EUlS10_E_NS1_11comp_targetILNS1_3genE3ELNS1_11target_archE908ELNS1_3gpuE7ELNS1_3repE0EEENS1_30default_config_static_selectorELNS0_4arch9wavefront6targetE1EEEvT1_,"axG",@progbits,_ZN7rocprim17ROCPRIM_400000_NS6detail17trampoline_kernelINS0_14default_configENS1_27scan_by_key_config_selectorImiEEZZNS1_16scan_by_key_implILNS1_25lookback_scan_determinismE0ELb0ES3_N6thrust23THRUST_200600_302600_NS18transform_iteratorI9row_indexNS9_17counting_iteratorImNS9_11use_defaultESD_SD_EESD_SD_EENS9_6detail15normal_iteratorINS9_10device_ptrIiEEEESK_iNS9_4plusIvEENS9_8equal_toIvEEiEE10hipError_tPvRmT2_T3_T4_T5_mT6_T7_P12ihipStream_tbENKUlT_T0_E_clISt17integral_constantIbLb0EES15_EEDaS10_S11_EUlS10_E_NS1_11comp_targetILNS1_3genE3ELNS1_11target_archE908ELNS1_3gpuE7ELNS1_3repE0EEENS1_30default_config_static_selectorELNS0_4arch9wavefront6targetE1EEEvT1_,comdat
.Lfunc_end7:
	.size	_ZN7rocprim17ROCPRIM_400000_NS6detail17trampoline_kernelINS0_14default_configENS1_27scan_by_key_config_selectorImiEEZZNS1_16scan_by_key_implILNS1_25lookback_scan_determinismE0ELb0ES3_N6thrust23THRUST_200600_302600_NS18transform_iteratorI9row_indexNS9_17counting_iteratorImNS9_11use_defaultESD_SD_EESD_SD_EENS9_6detail15normal_iteratorINS9_10device_ptrIiEEEESK_iNS9_4plusIvEENS9_8equal_toIvEEiEE10hipError_tPvRmT2_T3_T4_T5_mT6_T7_P12ihipStream_tbENKUlT_T0_E_clISt17integral_constantIbLb0EES15_EEDaS10_S11_EUlS10_E_NS1_11comp_targetILNS1_3genE3ELNS1_11target_archE908ELNS1_3gpuE7ELNS1_3repE0EEENS1_30default_config_static_selectorELNS0_4arch9wavefront6targetE1EEEvT1_, .Lfunc_end7-_ZN7rocprim17ROCPRIM_400000_NS6detail17trampoline_kernelINS0_14default_configENS1_27scan_by_key_config_selectorImiEEZZNS1_16scan_by_key_implILNS1_25lookback_scan_determinismE0ELb0ES3_N6thrust23THRUST_200600_302600_NS18transform_iteratorI9row_indexNS9_17counting_iteratorImNS9_11use_defaultESD_SD_EESD_SD_EENS9_6detail15normal_iteratorINS9_10device_ptrIiEEEESK_iNS9_4plusIvEENS9_8equal_toIvEEiEE10hipError_tPvRmT2_T3_T4_T5_mT6_T7_P12ihipStream_tbENKUlT_T0_E_clISt17integral_constantIbLb0EES15_EEDaS10_S11_EUlS10_E_NS1_11comp_targetILNS1_3genE3ELNS1_11target_archE908ELNS1_3gpuE7ELNS1_3repE0EEENS1_30default_config_static_selectorELNS0_4arch9wavefront6targetE1EEEvT1_
                                        ; -- End function
	.set _ZN7rocprim17ROCPRIM_400000_NS6detail17trampoline_kernelINS0_14default_configENS1_27scan_by_key_config_selectorImiEEZZNS1_16scan_by_key_implILNS1_25lookback_scan_determinismE0ELb0ES3_N6thrust23THRUST_200600_302600_NS18transform_iteratorI9row_indexNS9_17counting_iteratorImNS9_11use_defaultESD_SD_EESD_SD_EENS9_6detail15normal_iteratorINS9_10device_ptrIiEEEESK_iNS9_4plusIvEENS9_8equal_toIvEEiEE10hipError_tPvRmT2_T3_T4_T5_mT6_T7_P12ihipStream_tbENKUlT_T0_E_clISt17integral_constantIbLb0EES15_EEDaS10_S11_EUlS10_E_NS1_11comp_targetILNS1_3genE3ELNS1_11target_archE908ELNS1_3gpuE7ELNS1_3repE0EEENS1_30default_config_static_selectorELNS0_4arch9wavefront6targetE1EEEvT1_.num_vgpr, 0
	.set _ZN7rocprim17ROCPRIM_400000_NS6detail17trampoline_kernelINS0_14default_configENS1_27scan_by_key_config_selectorImiEEZZNS1_16scan_by_key_implILNS1_25lookback_scan_determinismE0ELb0ES3_N6thrust23THRUST_200600_302600_NS18transform_iteratorI9row_indexNS9_17counting_iteratorImNS9_11use_defaultESD_SD_EESD_SD_EENS9_6detail15normal_iteratorINS9_10device_ptrIiEEEESK_iNS9_4plusIvEENS9_8equal_toIvEEiEE10hipError_tPvRmT2_T3_T4_T5_mT6_T7_P12ihipStream_tbENKUlT_T0_E_clISt17integral_constantIbLb0EES15_EEDaS10_S11_EUlS10_E_NS1_11comp_targetILNS1_3genE3ELNS1_11target_archE908ELNS1_3gpuE7ELNS1_3repE0EEENS1_30default_config_static_selectorELNS0_4arch9wavefront6targetE1EEEvT1_.num_agpr, 0
	.set _ZN7rocprim17ROCPRIM_400000_NS6detail17trampoline_kernelINS0_14default_configENS1_27scan_by_key_config_selectorImiEEZZNS1_16scan_by_key_implILNS1_25lookback_scan_determinismE0ELb0ES3_N6thrust23THRUST_200600_302600_NS18transform_iteratorI9row_indexNS9_17counting_iteratorImNS9_11use_defaultESD_SD_EESD_SD_EENS9_6detail15normal_iteratorINS9_10device_ptrIiEEEESK_iNS9_4plusIvEENS9_8equal_toIvEEiEE10hipError_tPvRmT2_T3_T4_T5_mT6_T7_P12ihipStream_tbENKUlT_T0_E_clISt17integral_constantIbLb0EES15_EEDaS10_S11_EUlS10_E_NS1_11comp_targetILNS1_3genE3ELNS1_11target_archE908ELNS1_3gpuE7ELNS1_3repE0EEENS1_30default_config_static_selectorELNS0_4arch9wavefront6targetE1EEEvT1_.numbered_sgpr, 0
	.set _ZN7rocprim17ROCPRIM_400000_NS6detail17trampoline_kernelINS0_14default_configENS1_27scan_by_key_config_selectorImiEEZZNS1_16scan_by_key_implILNS1_25lookback_scan_determinismE0ELb0ES3_N6thrust23THRUST_200600_302600_NS18transform_iteratorI9row_indexNS9_17counting_iteratorImNS9_11use_defaultESD_SD_EESD_SD_EENS9_6detail15normal_iteratorINS9_10device_ptrIiEEEESK_iNS9_4plusIvEENS9_8equal_toIvEEiEE10hipError_tPvRmT2_T3_T4_T5_mT6_T7_P12ihipStream_tbENKUlT_T0_E_clISt17integral_constantIbLb0EES15_EEDaS10_S11_EUlS10_E_NS1_11comp_targetILNS1_3genE3ELNS1_11target_archE908ELNS1_3gpuE7ELNS1_3repE0EEENS1_30default_config_static_selectorELNS0_4arch9wavefront6targetE1EEEvT1_.num_named_barrier, 0
	.set _ZN7rocprim17ROCPRIM_400000_NS6detail17trampoline_kernelINS0_14default_configENS1_27scan_by_key_config_selectorImiEEZZNS1_16scan_by_key_implILNS1_25lookback_scan_determinismE0ELb0ES3_N6thrust23THRUST_200600_302600_NS18transform_iteratorI9row_indexNS9_17counting_iteratorImNS9_11use_defaultESD_SD_EESD_SD_EENS9_6detail15normal_iteratorINS9_10device_ptrIiEEEESK_iNS9_4plusIvEENS9_8equal_toIvEEiEE10hipError_tPvRmT2_T3_T4_T5_mT6_T7_P12ihipStream_tbENKUlT_T0_E_clISt17integral_constantIbLb0EES15_EEDaS10_S11_EUlS10_E_NS1_11comp_targetILNS1_3genE3ELNS1_11target_archE908ELNS1_3gpuE7ELNS1_3repE0EEENS1_30default_config_static_selectorELNS0_4arch9wavefront6targetE1EEEvT1_.private_seg_size, 0
	.set _ZN7rocprim17ROCPRIM_400000_NS6detail17trampoline_kernelINS0_14default_configENS1_27scan_by_key_config_selectorImiEEZZNS1_16scan_by_key_implILNS1_25lookback_scan_determinismE0ELb0ES3_N6thrust23THRUST_200600_302600_NS18transform_iteratorI9row_indexNS9_17counting_iteratorImNS9_11use_defaultESD_SD_EESD_SD_EENS9_6detail15normal_iteratorINS9_10device_ptrIiEEEESK_iNS9_4plusIvEENS9_8equal_toIvEEiEE10hipError_tPvRmT2_T3_T4_T5_mT6_T7_P12ihipStream_tbENKUlT_T0_E_clISt17integral_constantIbLb0EES15_EEDaS10_S11_EUlS10_E_NS1_11comp_targetILNS1_3genE3ELNS1_11target_archE908ELNS1_3gpuE7ELNS1_3repE0EEENS1_30default_config_static_selectorELNS0_4arch9wavefront6targetE1EEEvT1_.uses_vcc, 0
	.set _ZN7rocprim17ROCPRIM_400000_NS6detail17trampoline_kernelINS0_14default_configENS1_27scan_by_key_config_selectorImiEEZZNS1_16scan_by_key_implILNS1_25lookback_scan_determinismE0ELb0ES3_N6thrust23THRUST_200600_302600_NS18transform_iteratorI9row_indexNS9_17counting_iteratorImNS9_11use_defaultESD_SD_EESD_SD_EENS9_6detail15normal_iteratorINS9_10device_ptrIiEEEESK_iNS9_4plusIvEENS9_8equal_toIvEEiEE10hipError_tPvRmT2_T3_T4_T5_mT6_T7_P12ihipStream_tbENKUlT_T0_E_clISt17integral_constantIbLb0EES15_EEDaS10_S11_EUlS10_E_NS1_11comp_targetILNS1_3genE3ELNS1_11target_archE908ELNS1_3gpuE7ELNS1_3repE0EEENS1_30default_config_static_selectorELNS0_4arch9wavefront6targetE1EEEvT1_.uses_flat_scratch, 0
	.set _ZN7rocprim17ROCPRIM_400000_NS6detail17trampoline_kernelINS0_14default_configENS1_27scan_by_key_config_selectorImiEEZZNS1_16scan_by_key_implILNS1_25lookback_scan_determinismE0ELb0ES3_N6thrust23THRUST_200600_302600_NS18transform_iteratorI9row_indexNS9_17counting_iteratorImNS9_11use_defaultESD_SD_EESD_SD_EENS9_6detail15normal_iteratorINS9_10device_ptrIiEEEESK_iNS9_4plusIvEENS9_8equal_toIvEEiEE10hipError_tPvRmT2_T3_T4_T5_mT6_T7_P12ihipStream_tbENKUlT_T0_E_clISt17integral_constantIbLb0EES15_EEDaS10_S11_EUlS10_E_NS1_11comp_targetILNS1_3genE3ELNS1_11target_archE908ELNS1_3gpuE7ELNS1_3repE0EEENS1_30default_config_static_selectorELNS0_4arch9wavefront6targetE1EEEvT1_.has_dyn_sized_stack, 0
	.set _ZN7rocprim17ROCPRIM_400000_NS6detail17trampoline_kernelINS0_14default_configENS1_27scan_by_key_config_selectorImiEEZZNS1_16scan_by_key_implILNS1_25lookback_scan_determinismE0ELb0ES3_N6thrust23THRUST_200600_302600_NS18transform_iteratorI9row_indexNS9_17counting_iteratorImNS9_11use_defaultESD_SD_EESD_SD_EENS9_6detail15normal_iteratorINS9_10device_ptrIiEEEESK_iNS9_4plusIvEENS9_8equal_toIvEEiEE10hipError_tPvRmT2_T3_T4_T5_mT6_T7_P12ihipStream_tbENKUlT_T0_E_clISt17integral_constantIbLb0EES15_EEDaS10_S11_EUlS10_E_NS1_11comp_targetILNS1_3genE3ELNS1_11target_archE908ELNS1_3gpuE7ELNS1_3repE0EEENS1_30default_config_static_selectorELNS0_4arch9wavefront6targetE1EEEvT1_.has_recursion, 0
	.set _ZN7rocprim17ROCPRIM_400000_NS6detail17trampoline_kernelINS0_14default_configENS1_27scan_by_key_config_selectorImiEEZZNS1_16scan_by_key_implILNS1_25lookback_scan_determinismE0ELb0ES3_N6thrust23THRUST_200600_302600_NS18transform_iteratorI9row_indexNS9_17counting_iteratorImNS9_11use_defaultESD_SD_EESD_SD_EENS9_6detail15normal_iteratorINS9_10device_ptrIiEEEESK_iNS9_4plusIvEENS9_8equal_toIvEEiEE10hipError_tPvRmT2_T3_T4_T5_mT6_T7_P12ihipStream_tbENKUlT_T0_E_clISt17integral_constantIbLb0EES15_EEDaS10_S11_EUlS10_E_NS1_11comp_targetILNS1_3genE3ELNS1_11target_archE908ELNS1_3gpuE7ELNS1_3repE0EEENS1_30default_config_static_selectorELNS0_4arch9wavefront6targetE1EEEvT1_.has_indirect_call, 0
	.section	.AMDGPU.csdata,"",@progbits
; Kernel info:
; codeLenInByte = 0
; TotalNumSgprs: 4
; NumVgprs: 0
; ScratchSize: 0
; MemoryBound: 0
; FloatMode: 240
; IeeeMode: 1
; LDSByteSize: 0 bytes/workgroup (compile time only)
; SGPRBlocks: 0
; VGPRBlocks: 0
; NumSGPRsForWavesPerEU: 4
; NumVGPRsForWavesPerEU: 1
; Occupancy: 10
; WaveLimiterHint : 0
; COMPUTE_PGM_RSRC2:SCRATCH_EN: 0
; COMPUTE_PGM_RSRC2:USER_SGPR: 6
; COMPUTE_PGM_RSRC2:TRAP_HANDLER: 0
; COMPUTE_PGM_RSRC2:TGID_X_EN: 1
; COMPUTE_PGM_RSRC2:TGID_Y_EN: 0
; COMPUTE_PGM_RSRC2:TGID_Z_EN: 0
; COMPUTE_PGM_RSRC2:TIDIG_COMP_CNT: 0
	.section	.text._ZN7rocprim17ROCPRIM_400000_NS6detail17trampoline_kernelINS0_14default_configENS1_27scan_by_key_config_selectorImiEEZZNS1_16scan_by_key_implILNS1_25lookback_scan_determinismE0ELb0ES3_N6thrust23THRUST_200600_302600_NS18transform_iteratorI9row_indexNS9_17counting_iteratorImNS9_11use_defaultESD_SD_EESD_SD_EENS9_6detail15normal_iteratorINS9_10device_ptrIiEEEESK_iNS9_4plusIvEENS9_8equal_toIvEEiEE10hipError_tPvRmT2_T3_T4_T5_mT6_T7_P12ihipStream_tbENKUlT_T0_E_clISt17integral_constantIbLb0EES15_EEDaS10_S11_EUlS10_E_NS1_11comp_targetILNS1_3genE2ELNS1_11target_archE906ELNS1_3gpuE6ELNS1_3repE0EEENS1_30default_config_static_selectorELNS0_4arch9wavefront6targetE1EEEvT1_,"axG",@progbits,_ZN7rocprim17ROCPRIM_400000_NS6detail17trampoline_kernelINS0_14default_configENS1_27scan_by_key_config_selectorImiEEZZNS1_16scan_by_key_implILNS1_25lookback_scan_determinismE0ELb0ES3_N6thrust23THRUST_200600_302600_NS18transform_iteratorI9row_indexNS9_17counting_iteratorImNS9_11use_defaultESD_SD_EESD_SD_EENS9_6detail15normal_iteratorINS9_10device_ptrIiEEEESK_iNS9_4plusIvEENS9_8equal_toIvEEiEE10hipError_tPvRmT2_T3_T4_T5_mT6_T7_P12ihipStream_tbENKUlT_T0_E_clISt17integral_constantIbLb0EES15_EEDaS10_S11_EUlS10_E_NS1_11comp_targetILNS1_3genE2ELNS1_11target_archE906ELNS1_3gpuE6ELNS1_3repE0EEENS1_30default_config_static_selectorELNS0_4arch9wavefront6targetE1EEEvT1_,comdat
	.protected	_ZN7rocprim17ROCPRIM_400000_NS6detail17trampoline_kernelINS0_14default_configENS1_27scan_by_key_config_selectorImiEEZZNS1_16scan_by_key_implILNS1_25lookback_scan_determinismE0ELb0ES3_N6thrust23THRUST_200600_302600_NS18transform_iteratorI9row_indexNS9_17counting_iteratorImNS9_11use_defaultESD_SD_EESD_SD_EENS9_6detail15normal_iteratorINS9_10device_ptrIiEEEESK_iNS9_4plusIvEENS9_8equal_toIvEEiEE10hipError_tPvRmT2_T3_T4_T5_mT6_T7_P12ihipStream_tbENKUlT_T0_E_clISt17integral_constantIbLb0EES15_EEDaS10_S11_EUlS10_E_NS1_11comp_targetILNS1_3genE2ELNS1_11target_archE906ELNS1_3gpuE6ELNS1_3repE0EEENS1_30default_config_static_selectorELNS0_4arch9wavefront6targetE1EEEvT1_ ; -- Begin function _ZN7rocprim17ROCPRIM_400000_NS6detail17trampoline_kernelINS0_14default_configENS1_27scan_by_key_config_selectorImiEEZZNS1_16scan_by_key_implILNS1_25lookback_scan_determinismE0ELb0ES3_N6thrust23THRUST_200600_302600_NS18transform_iteratorI9row_indexNS9_17counting_iteratorImNS9_11use_defaultESD_SD_EESD_SD_EENS9_6detail15normal_iteratorINS9_10device_ptrIiEEEESK_iNS9_4plusIvEENS9_8equal_toIvEEiEE10hipError_tPvRmT2_T3_T4_T5_mT6_T7_P12ihipStream_tbENKUlT_T0_E_clISt17integral_constantIbLb0EES15_EEDaS10_S11_EUlS10_E_NS1_11comp_targetILNS1_3genE2ELNS1_11target_archE906ELNS1_3gpuE6ELNS1_3repE0EEENS1_30default_config_static_selectorELNS0_4arch9wavefront6targetE1EEEvT1_
	.globl	_ZN7rocprim17ROCPRIM_400000_NS6detail17trampoline_kernelINS0_14default_configENS1_27scan_by_key_config_selectorImiEEZZNS1_16scan_by_key_implILNS1_25lookback_scan_determinismE0ELb0ES3_N6thrust23THRUST_200600_302600_NS18transform_iteratorI9row_indexNS9_17counting_iteratorImNS9_11use_defaultESD_SD_EESD_SD_EENS9_6detail15normal_iteratorINS9_10device_ptrIiEEEESK_iNS9_4plusIvEENS9_8equal_toIvEEiEE10hipError_tPvRmT2_T3_T4_T5_mT6_T7_P12ihipStream_tbENKUlT_T0_E_clISt17integral_constantIbLb0EES15_EEDaS10_S11_EUlS10_E_NS1_11comp_targetILNS1_3genE2ELNS1_11target_archE906ELNS1_3gpuE6ELNS1_3repE0EEENS1_30default_config_static_selectorELNS0_4arch9wavefront6targetE1EEEvT1_
	.p2align	8
	.type	_ZN7rocprim17ROCPRIM_400000_NS6detail17trampoline_kernelINS0_14default_configENS1_27scan_by_key_config_selectorImiEEZZNS1_16scan_by_key_implILNS1_25lookback_scan_determinismE0ELb0ES3_N6thrust23THRUST_200600_302600_NS18transform_iteratorI9row_indexNS9_17counting_iteratorImNS9_11use_defaultESD_SD_EESD_SD_EENS9_6detail15normal_iteratorINS9_10device_ptrIiEEEESK_iNS9_4plusIvEENS9_8equal_toIvEEiEE10hipError_tPvRmT2_T3_T4_T5_mT6_T7_P12ihipStream_tbENKUlT_T0_E_clISt17integral_constantIbLb0EES15_EEDaS10_S11_EUlS10_E_NS1_11comp_targetILNS1_3genE2ELNS1_11target_archE906ELNS1_3gpuE6ELNS1_3repE0EEENS1_30default_config_static_selectorELNS0_4arch9wavefront6targetE1EEEvT1_,@function
_ZN7rocprim17ROCPRIM_400000_NS6detail17trampoline_kernelINS0_14default_configENS1_27scan_by_key_config_selectorImiEEZZNS1_16scan_by_key_implILNS1_25lookback_scan_determinismE0ELb0ES3_N6thrust23THRUST_200600_302600_NS18transform_iteratorI9row_indexNS9_17counting_iteratorImNS9_11use_defaultESD_SD_EESD_SD_EENS9_6detail15normal_iteratorINS9_10device_ptrIiEEEESK_iNS9_4plusIvEENS9_8equal_toIvEEiEE10hipError_tPvRmT2_T3_T4_T5_mT6_T7_P12ihipStream_tbENKUlT_T0_E_clISt17integral_constantIbLb0EES15_EEDaS10_S11_EUlS10_E_NS1_11comp_targetILNS1_3genE2ELNS1_11target_archE906ELNS1_3gpuE6ELNS1_3repE0EEENS1_30default_config_static_selectorELNS0_4arch9wavefront6targetE1EEEvT1_: ; @_ZN7rocprim17ROCPRIM_400000_NS6detail17trampoline_kernelINS0_14default_configENS1_27scan_by_key_config_selectorImiEEZZNS1_16scan_by_key_implILNS1_25lookback_scan_determinismE0ELb0ES3_N6thrust23THRUST_200600_302600_NS18transform_iteratorI9row_indexNS9_17counting_iteratorImNS9_11use_defaultESD_SD_EESD_SD_EENS9_6detail15normal_iteratorINS9_10device_ptrIiEEEESK_iNS9_4plusIvEENS9_8equal_toIvEEiEE10hipError_tPvRmT2_T3_T4_T5_mT6_T7_P12ihipStream_tbENKUlT_T0_E_clISt17integral_constantIbLb0EES15_EEDaS10_S11_EUlS10_E_NS1_11comp_targetILNS1_3genE2ELNS1_11target_archE906ELNS1_3gpuE6ELNS1_3repE0EEENS1_30default_config_static_selectorELNS0_4arch9wavefront6targetE1EEEvT1_
; %bb.0:
	s_load_dwordx8 s[44:51], s[4:5], 0x0
	s_load_dwordx4 s[52:55], s[4:5], 0x30
	s_load_dwordx2 s[58:59], s[4:5], 0x40
	s_load_dword s0, s[4:5], 0x48
	s_load_dwordx8 s[36:43], s[4:5], 0x50
	s_waitcnt lgkmcnt(0)
	s_lshl_b64 s[56:57], s[48:49], 2
	s_add_u32 s2, s50, s56
	s_addc_u32 s3, s51, s57
	s_mul_i32 s1, s59, s0
	s_mul_hi_u32 s7, s58, s0
	s_add_i32 s9, s7, s1
	s_mul_i32 s10, s58, s0
	s_cmp_lg_u64 s[40:41], 0
	s_mul_i32 s0, s6, 0xe00
	s_cselect_b64 s[50:51], -1, 0
	s_add_u32 s7, s44, s0
	s_mov_b32 s8, 0
	s_addc_u32 s11, s45, 0
	s_mov_b32 s1, s8
	s_add_u32 s44, s7, s48
	s_addc_u32 s45, s11, s49
	s_lshl_b64 s[40:41], s[0:1], 2
	s_add_u32 s7, s2, s40
	s_addc_u32 s55, s3, s41
	s_add_u32 s48, s10, s6
	s_addc_u32 s49, s9, 0
	s_add_u32 s10, s36, -1
	s_addc_u32 s11, s37, -1
	v_mov_b32_e32 v1, s10
	v_mov_b32_e32 v2, s11
	v_cmp_ge_u64_e64 s[0:1], s[48:49], v[1:2]
	s_mov_b64 s[12:13], 0
	s_mov_b64 s[2:3], -1
	s_and_b64 vcc, exec, s[0:1]
	s_mul_i32 s33, s10, 0xfffff200
	s_barrier
	s_cbranch_vccz .LBB8_91
; %bb.1:
	s_or_b64 s[2:3], s[44:45], s[46:47]
	s_mov_b32 s9, s3
	s_cmp_lg_u64 s[8:9], 0
	s_cbranch_scc0 .LBB8_92
; %bb.2:
	v_cvt_f32_u32_e32 v1, s46
	v_cvt_f32_u32_e32 v2, s47
	s_sub_u32 s10, 0, s46
	s_subb_u32 s11, 0, s47
	v_madmk_f32 v1, v2, 0x4f800000, v1
	v_rcp_f32_e32 v1, v1
	v_mul_f32_e32 v1, 0x5f7ffffc, v1
	v_mul_f32_e32 v2, 0x2f800000, v1
	v_trunc_f32_e32 v2, v2
	v_madmk_f32 v1, v2, 0xcf800000, v1
	v_cvt_u32_f32_e32 v2, v2
	v_cvt_u32_f32_e32 v1, v1
	v_readfirstlane_b32 s12, v2
	v_readfirstlane_b32 s8, v1
	s_mul_i32 s9, s10, s12
	s_mul_hi_u32 s14, s10, s8
	s_mul_i32 s13, s11, s8
	s_add_i32 s9, s14, s9
	s_add_i32 s9, s9, s13
	s_mul_i32 s15, s10, s8
	s_mul_i32 s14, s8, s9
	s_mul_hi_u32 s16, s8, s15
	s_mul_hi_u32 s13, s8, s9
	s_add_u32 s14, s16, s14
	s_addc_u32 s13, 0, s13
	s_mul_hi_u32 s17, s12, s15
	s_mul_i32 s15, s12, s15
	s_add_u32 s14, s14, s15
	s_mul_hi_u32 s16, s12, s9
	s_addc_u32 s13, s13, s17
	s_addc_u32 s14, s16, 0
	s_mul_i32 s9, s12, s9
	s_add_u32 s9, s13, s9
	s_addc_u32 s13, 0, s14
	s_add_u32 s14, s8, s9
	s_cselect_b64 s[8:9], -1, 0
	s_cmp_lg_u64 s[8:9], 0
	s_addc_u32 s12, s12, s13
	s_mul_i32 s8, s10, s12
	s_mul_hi_u32 s9, s10, s14
	s_add_i32 s8, s9, s8
	s_mul_i32 s11, s11, s14
	s_add_i32 s8, s8, s11
	s_mul_i32 s10, s10, s14
	s_mul_hi_u32 s11, s12, s10
	s_mul_i32 s13, s12, s10
	s_mul_i32 s16, s14, s8
	s_mul_hi_u32 s10, s14, s10
	s_mul_hi_u32 s15, s14, s8
	s_add_u32 s10, s10, s16
	s_addc_u32 s15, 0, s15
	s_add_u32 s10, s10, s13
	s_mul_hi_u32 s9, s12, s8
	s_addc_u32 s10, s15, s11
	s_addc_u32 s9, s9, 0
	s_mul_i32 s8, s12, s8
	s_add_u32 s8, s10, s8
	s_addc_u32 s10, 0, s9
	s_add_u32 s11, s14, s8
	s_cselect_b64 s[8:9], -1, 0
	s_cmp_lg_u64 s[8:9], 0
	s_addc_u32 s8, s12, s10
	s_mul_i32 s10, s44, s8
	s_mul_hi_u32 s12, s44, s11
	s_mul_hi_u32 s9, s44, s8
	s_add_u32 s10, s12, s10
	s_addc_u32 s9, 0, s9
	s_mul_hi_u32 s13, s45, s11
	s_mul_i32 s11, s45, s11
	s_add_u32 s10, s10, s11
	s_mul_hi_u32 s12, s45, s8
	s_addc_u32 s9, s9, s13
	s_addc_u32 s10, s12, 0
	s_mul_i32 s8, s45, s8
	s_add_u32 s12, s9, s8
	s_addc_u32 s13, 0, s10
	s_mul_i32 s8, s46, s13
	s_mul_hi_u32 s9, s46, s12
	s_add_i32 s8, s9, s8
	s_mul_i32 s9, s47, s12
	s_add_i32 s14, s8, s9
	s_sub_i32 s10, s45, s14
	s_mul_i32 s8, s46, s12
	s_sub_u32 s15, s44, s8
	s_cselect_b64 s[8:9], -1, 0
	s_cmp_lg_u64 s[8:9], 0
	s_subb_u32 s16, s10, s47
	s_sub_u32 s17, s15, s46
	s_cselect_b64 s[10:11], -1, 0
	s_cmp_lg_u64 s[10:11], 0
	s_subb_u32 s10, s16, 0
	s_cmp_ge_u32 s10, s47
	s_cselect_b32 s11, -1, 0
	s_cmp_ge_u32 s17, s46
	s_cselect_b32 s16, -1, 0
	s_cmp_eq_u32 s10, s47
	s_cselect_b32 s10, s16, s11
	s_add_u32 s11, s12, 1
	s_addc_u32 s16, s13, 0
	s_add_u32 s17, s12, 2
	s_addc_u32 s18, s13, 0
	s_cmp_lg_u32 s10, 0
	s_cselect_b32 s10, s17, s11
	s_cselect_b32 s11, s18, s16
	s_cmp_lg_u64 s[8:9], 0
	s_subb_u32 s8, s45, s14
	s_cmp_ge_u32 s8, s47
	s_cselect_b32 s9, -1, 0
	s_cmp_ge_u32 s15, s46
	s_cselect_b32 s14, -1, 0
	s_cmp_eq_u32 s8, s47
	s_cselect_b32 s8, s14, s9
	s_cmp_lg_u32 s8, 0
	s_cselect_b32 s61, s11, s13
	s_cselect_b32 s60, s10, s12
	s_cbranch_execnz .LBB8_4
.LBB8_3:
	v_cvt_f32_u32_e32 v1, s46
	s_sub_i32 s2, 0, s46
	s_mov_b32 s61, 0
	v_rcp_iflag_f32_e32 v1, v1
	v_mul_f32_e32 v1, 0x4f7ffffe, v1
	v_cvt_u32_f32_e32 v1, v1
	v_readfirstlane_b32 s3, v1
	s_mul_i32 s2, s2, s3
	s_mul_hi_u32 s2, s3, s2
	s_add_i32 s3, s3, s2
	s_mul_hi_u32 s2, s44, s3
	s_mul_i32 s8, s2, s46
	s_sub_i32 s8, s44, s8
	s_add_i32 s3, s2, 1
	s_sub_i32 s9, s8, s46
	s_cmp_ge_u32 s8, s46
	s_cselect_b32 s2, s3, s2
	s_cselect_b32 s8, s9, s8
	s_add_i32 s3, s2, 1
	s_cmp_ge_u32 s8, s46
	s_cselect_b32 s60, s3, s2
.LBB8_4:
	s_add_i32 s66, s33, s54
	v_mov_b32_e32 v1, s60
	v_cmp_gt_u32_e64 s[2:3], s66, v0
	v_mov_b32_e32 v2, s61
	s_and_saveexec_b64 s[10:11], s[2:3]
	s_cbranch_execz .LBB8_10
; %bb.5:
	v_mov_b32_e32 v2, s45
	v_add_co_u32_e32 v3, vcc, s44, v0
	v_addc_co_u32_e32 v4, vcc, 0, v2, vcc
	v_mov_b32_e32 v1, 0
	v_or_b32_e32 v2, s47, v4
	v_cmp_ne_u64_e32 vcc, 0, v[1:2]
                                        ; implicit-def: $vgpr1_vgpr2
	s_and_saveexec_b64 s[8:9], vcc
	s_xor_b64 s[12:13], exec, s[8:9]
	s_cbranch_execz .LBB8_7
; %bb.6:
	v_cvt_f32_u32_e32 v1, s46
	v_cvt_f32_u32_e32 v2, s47
	s_sub_u32 s14, 0, s46
	s_subb_u32 s15, 0, s47
	v_madmk_f32 v1, v2, 0x4f800000, v1
	v_rcp_f32_e32 v1, v1
	v_mul_f32_e32 v1, 0x5f7ffffc, v1
	v_mul_f32_e32 v2, 0x2f800000, v1
	v_trunc_f32_e32 v2, v2
	v_madmk_f32 v1, v2, 0xcf800000, v1
	v_cvt_u32_f32_e32 v2, v2
	v_cvt_u32_f32_e32 v1, v1
	v_readfirstlane_b32 s16, v2
	v_readfirstlane_b32 s8, v1
	s_mul_i32 s9, s14, s16
	s_mul_hi_u32 s18, s14, s8
	s_mul_i32 s17, s15, s8
	s_add_i32 s9, s18, s9
	s_mul_i32 s19, s14, s8
	s_add_i32 s9, s9, s17
	s_mul_i32 s18, s8, s9
	s_mul_hi_u32 s20, s8, s19
	s_mul_hi_u32 s17, s8, s9
	s_add_u32 s18, s20, s18
	s_addc_u32 s17, 0, s17
	s_mul_hi_u32 s21, s16, s19
	s_mul_i32 s19, s16, s19
	s_add_u32 s18, s18, s19
	s_mul_hi_u32 s20, s16, s9
	s_addc_u32 s17, s17, s21
	s_addc_u32 s18, s20, 0
	s_mul_i32 s9, s16, s9
	s_add_u32 s9, s17, s9
	s_addc_u32 s17, 0, s18
	s_add_u32 s18, s8, s9
	s_cselect_b64 s[8:9], -1, 0
	s_cmp_lg_u64 s[8:9], 0
	s_addc_u32 s16, s16, s17
	s_mul_i32 s8, s14, s16
	s_mul_hi_u32 s9, s14, s18
	s_add_i32 s8, s9, s8
	s_mul_i32 s15, s15, s18
	s_add_i32 s8, s8, s15
	s_mul_i32 s14, s14, s18
	s_mul_hi_u32 s15, s16, s14
	s_mul_i32 s17, s16, s14
	s_mul_i32 s20, s18, s8
	s_mul_hi_u32 s14, s18, s14
	s_mul_hi_u32 s19, s18, s8
	s_add_u32 s14, s14, s20
	s_addc_u32 s19, 0, s19
	s_add_u32 s14, s14, s17
	s_mul_hi_u32 s9, s16, s8
	s_addc_u32 s14, s19, s15
	s_addc_u32 s9, s9, 0
	s_mul_i32 s8, s16, s8
	s_add_u32 s8, s14, s8
	s_addc_u32 s14, 0, s9
	s_add_u32 s15, s18, s8
	s_cselect_b64 s[8:9], -1, 0
	s_cmp_lg_u64 s[8:9], 0
	s_addc_u32 s14, s16, s14
	v_mad_u64_u32 v[1:2], s[8:9], v3, s14, 0
	v_mul_hi_u32 v5, v3, s15
	v_add_co_u32_e32 v7, vcc, v5, v1
	v_addc_co_u32_e32 v8, vcc, 0, v2, vcc
	v_mad_u64_u32 v[1:2], s[8:9], v4, s15, 0
	v_mad_u64_u32 v[5:6], s[8:9], v4, s14, 0
	v_add_co_u32_e32 v1, vcc, v7, v1
	v_addc_co_u32_e32 v1, vcc, v8, v2, vcc
	v_addc_co_u32_e32 v2, vcc, 0, v6, vcc
	v_add_co_u32_e32 v5, vcc, v1, v5
	v_addc_co_u32_e32 v6, vcc, 0, v2, vcc
	v_mul_lo_u32 v7, s47, v5
	v_mul_lo_u32 v8, s46, v6
	v_mad_u64_u32 v[1:2], s[8:9], s46, v5, 0
	v_add3_u32 v2, v2, v8, v7
	v_sub_u32_e32 v7, v4, v2
	v_mov_b32_e32 v8, s47
	v_sub_co_u32_e32 v1, vcc, v3, v1
	v_subb_co_u32_e64 v3, s[8:9], v7, v8, vcc
	v_subrev_co_u32_e64 v7, s[8:9], s46, v1
	v_subbrev_co_u32_e64 v3, s[8:9], 0, v3, s[8:9]
	v_cmp_le_u32_e64 s[8:9], s47, v3
	v_cndmask_b32_e64 v8, 0, -1, s[8:9]
	v_cmp_le_u32_e64 s[8:9], s46, v7
	v_cndmask_b32_e64 v7, 0, -1, s[8:9]
	v_cmp_eq_u32_e64 s[8:9], s47, v3
	v_cndmask_b32_e64 v3, v8, v7, s[8:9]
	v_add_co_u32_e64 v7, s[8:9], 2, v5
	v_subb_co_u32_e32 v2, vcc, v4, v2, vcc
	v_addc_co_u32_e64 v8, s[8:9], 0, v6, s[8:9]
	v_cmp_le_u32_e32 vcc, s47, v2
	v_add_co_u32_e64 v9, s[8:9], 1, v5
	v_cndmask_b32_e64 v4, 0, -1, vcc
	v_cmp_le_u32_e32 vcc, s46, v1
	v_addc_co_u32_e64 v10, s[8:9], 0, v6, s[8:9]
	v_cndmask_b32_e64 v1, 0, -1, vcc
	v_cmp_eq_u32_e32 vcc, s47, v2
	v_cmp_ne_u32_e64 s[8:9], 0, v3
	v_cndmask_b32_e32 v1, v4, v1, vcc
	v_cndmask_b32_e64 v3, v10, v8, s[8:9]
	v_cmp_ne_u32_e32 vcc, 0, v1
	v_cndmask_b32_e64 v1, v9, v7, s[8:9]
	v_cndmask_b32_e32 v2, v6, v3, vcc
	v_cndmask_b32_e32 v1, v5, v1, vcc
                                        ; implicit-def: $vgpr3
.LBB8_7:
	s_andn2_saveexec_b64 s[8:9], s[12:13]
	s_cbranch_execz .LBB8_9
; %bb.8:
	v_cvt_f32_u32_e32 v1, s46
	s_sub_i32 s12, 0, s46
	v_rcp_iflag_f32_e32 v1, v1
	v_mul_f32_e32 v1, 0x4f7ffffe, v1
	v_cvt_u32_f32_e32 v1, v1
	v_mul_lo_u32 v2, s12, v1
	v_mul_hi_u32 v2, v1, v2
	v_add_u32_e32 v1, v1, v2
	v_mul_hi_u32 v1, v3, v1
	v_mul_lo_u32 v2, v1, s46
	v_add_u32_e32 v4, 1, v1
	v_sub_u32_e32 v2, v3, v2
	v_subrev_u32_e32 v3, s46, v2
	v_cmp_le_u32_e32 vcc, s46, v2
	v_cndmask_b32_e32 v2, v2, v3, vcc
	v_cndmask_b32_e32 v1, v1, v4, vcc
	v_add_u32_e32 v3, 1, v1
	v_cmp_le_u32_e32 vcc, s46, v2
	v_cndmask_b32_e32 v1, v1, v3, vcc
	v_mov_b32_e32 v2, 0
.LBB8_9:
	s_or_b64 exec, exec, s[8:9]
.LBB8_10:
	s_or_b64 exec, exec, s[10:11]
	v_or_b32_e32 v5, 0x100, v0
	v_mov_b32_e32 v3, s60
	v_cmp_gt_u32_e64 s[34:35], s66, v5
	v_mov_b32_e32 v4, s61
	s_and_saveexec_b64 s[10:11], s[34:35]
	s_cbranch_execz .LBB8_16
; %bb.11:
	v_mov_b32_e32 v4, s45
	v_add_co_u32_e32 v5, vcc, s44, v5
	v_addc_co_u32_e32 v6, vcc, 0, v4, vcc
	v_mov_b32_e32 v3, 0
	v_or_b32_e32 v4, s47, v6
	v_cmp_ne_u64_e32 vcc, 0, v[3:4]
                                        ; implicit-def: $vgpr3_vgpr4
	s_and_saveexec_b64 s[8:9], vcc
	s_xor_b64 s[12:13], exec, s[8:9]
	s_cbranch_execz .LBB8_13
; %bb.12:
	v_cvt_f32_u32_e32 v3, s46
	v_cvt_f32_u32_e32 v4, s47
	s_sub_u32 s14, 0, s46
	s_subb_u32 s15, 0, s47
	v_madmk_f32 v3, v4, 0x4f800000, v3
	v_rcp_f32_e32 v3, v3
	v_mul_f32_e32 v3, 0x5f7ffffc, v3
	v_mul_f32_e32 v4, 0x2f800000, v3
	v_trunc_f32_e32 v4, v4
	v_madmk_f32 v3, v4, 0xcf800000, v3
	v_cvt_u32_f32_e32 v4, v4
	v_cvt_u32_f32_e32 v3, v3
	v_readfirstlane_b32 s16, v4
	v_readfirstlane_b32 s8, v3
	s_mul_i32 s9, s14, s16
	s_mul_hi_u32 s18, s14, s8
	s_mul_i32 s17, s15, s8
	s_add_i32 s9, s18, s9
	s_mul_i32 s19, s14, s8
	s_add_i32 s9, s9, s17
	s_mul_i32 s18, s8, s9
	s_mul_hi_u32 s20, s8, s19
	s_mul_hi_u32 s17, s8, s9
	s_add_u32 s18, s20, s18
	s_addc_u32 s17, 0, s17
	s_mul_hi_u32 s21, s16, s19
	s_mul_i32 s19, s16, s19
	s_add_u32 s18, s18, s19
	s_mul_hi_u32 s20, s16, s9
	s_addc_u32 s17, s17, s21
	s_addc_u32 s18, s20, 0
	s_mul_i32 s9, s16, s9
	s_add_u32 s9, s17, s9
	s_addc_u32 s17, 0, s18
	s_add_u32 s18, s8, s9
	s_cselect_b64 s[8:9], -1, 0
	s_cmp_lg_u64 s[8:9], 0
	s_addc_u32 s16, s16, s17
	s_mul_i32 s8, s14, s16
	s_mul_hi_u32 s9, s14, s18
	s_add_i32 s8, s9, s8
	s_mul_i32 s15, s15, s18
	s_add_i32 s8, s8, s15
	s_mul_i32 s14, s14, s18
	s_mul_hi_u32 s15, s16, s14
	s_mul_i32 s17, s16, s14
	s_mul_i32 s20, s18, s8
	s_mul_hi_u32 s14, s18, s14
	s_mul_hi_u32 s19, s18, s8
	s_add_u32 s14, s14, s20
	s_addc_u32 s19, 0, s19
	s_add_u32 s14, s14, s17
	s_mul_hi_u32 s9, s16, s8
	s_addc_u32 s14, s19, s15
	s_addc_u32 s9, s9, 0
	s_mul_i32 s8, s16, s8
	s_add_u32 s8, s14, s8
	s_addc_u32 s14, 0, s9
	s_add_u32 s15, s18, s8
	s_cselect_b64 s[8:9], -1, 0
	s_cmp_lg_u64 s[8:9], 0
	s_addc_u32 s14, s16, s14
	v_mad_u64_u32 v[3:4], s[8:9], v5, s14, 0
	v_mul_hi_u32 v7, v5, s15
	v_add_co_u32_e32 v9, vcc, v7, v3
	v_addc_co_u32_e32 v10, vcc, 0, v4, vcc
	v_mad_u64_u32 v[3:4], s[8:9], v6, s15, 0
	v_mad_u64_u32 v[7:8], s[8:9], v6, s14, 0
	v_add_co_u32_e32 v3, vcc, v9, v3
	v_addc_co_u32_e32 v3, vcc, v10, v4, vcc
	v_addc_co_u32_e32 v4, vcc, 0, v8, vcc
	v_add_co_u32_e32 v7, vcc, v3, v7
	v_addc_co_u32_e32 v8, vcc, 0, v4, vcc
	v_mul_lo_u32 v9, s47, v7
	v_mul_lo_u32 v10, s46, v8
	v_mad_u64_u32 v[3:4], s[8:9], s46, v7, 0
	v_add3_u32 v4, v4, v10, v9
	v_sub_u32_e32 v9, v6, v4
	v_mov_b32_e32 v10, s47
	v_sub_co_u32_e32 v3, vcc, v5, v3
	v_subb_co_u32_e64 v5, s[8:9], v9, v10, vcc
	v_subrev_co_u32_e64 v9, s[8:9], s46, v3
	v_subbrev_co_u32_e64 v5, s[8:9], 0, v5, s[8:9]
	v_cmp_le_u32_e64 s[8:9], s47, v5
	v_cndmask_b32_e64 v10, 0, -1, s[8:9]
	v_cmp_le_u32_e64 s[8:9], s46, v9
	v_cndmask_b32_e64 v9, 0, -1, s[8:9]
	v_cmp_eq_u32_e64 s[8:9], s47, v5
	v_cndmask_b32_e64 v5, v10, v9, s[8:9]
	v_add_co_u32_e64 v9, s[8:9], 2, v7
	v_subb_co_u32_e32 v4, vcc, v6, v4, vcc
	v_addc_co_u32_e64 v10, s[8:9], 0, v8, s[8:9]
	v_cmp_le_u32_e32 vcc, s47, v4
	v_add_co_u32_e64 v11, s[8:9], 1, v7
	v_cndmask_b32_e64 v6, 0, -1, vcc
	v_cmp_le_u32_e32 vcc, s46, v3
	v_addc_co_u32_e64 v12, s[8:9], 0, v8, s[8:9]
	v_cndmask_b32_e64 v3, 0, -1, vcc
	v_cmp_eq_u32_e32 vcc, s47, v4
	v_cmp_ne_u32_e64 s[8:9], 0, v5
	v_cndmask_b32_e32 v3, v6, v3, vcc
	v_cndmask_b32_e64 v5, v12, v10, s[8:9]
	v_cmp_ne_u32_e32 vcc, 0, v3
	v_cndmask_b32_e64 v3, v11, v9, s[8:9]
	v_cndmask_b32_e32 v4, v8, v5, vcc
	v_cndmask_b32_e32 v3, v7, v3, vcc
                                        ; implicit-def: $vgpr5
.LBB8_13:
	s_andn2_saveexec_b64 s[8:9], s[12:13]
	s_cbranch_execz .LBB8_15
; %bb.14:
	v_cvt_f32_u32_e32 v3, s46
	s_sub_i32 s12, 0, s46
	v_rcp_iflag_f32_e32 v3, v3
	v_mul_f32_e32 v3, 0x4f7ffffe, v3
	v_cvt_u32_f32_e32 v3, v3
	v_mul_lo_u32 v4, s12, v3
	v_mul_hi_u32 v4, v3, v4
	v_add_u32_e32 v3, v3, v4
	v_mul_hi_u32 v3, v5, v3
	v_mul_lo_u32 v4, v3, s46
	v_add_u32_e32 v6, 1, v3
	v_sub_u32_e32 v4, v5, v4
	v_subrev_u32_e32 v5, s46, v4
	v_cmp_le_u32_e32 vcc, s46, v4
	v_cndmask_b32_e32 v4, v4, v5, vcc
	v_cndmask_b32_e32 v3, v3, v6, vcc
	v_add_u32_e32 v5, 1, v3
	v_cmp_le_u32_e32 vcc, s46, v4
	v_cndmask_b32_e32 v3, v3, v5, vcc
	v_mov_b32_e32 v4, 0
.LBB8_15:
	s_or_b64 exec, exec, s[8:9]
.LBB8_16:
	s_or_b64 exec, exec, s[10:11]
	v_or_b32_e32 v7, 0x200, v0
	v_mov_b32_e32 v5, s60
	v_cmp_gt_u32_e64 s[8:9], s66, v7
	v_mov_b32_e32 v6, s61
	s_and_saveexec_b64 s[12:13], s[8:9]
	s_cbranch_execz .LBB8_22
; %bb.17:
	v_mov_b32_e32 v6, s45
	v_add_co_u32_e32 v7, vcc, s44, v7
	v_addc_co_u32_e32 v8, vcc, 0, v6, vcc
	v_mov_b32_e32 v5, 0
	v_or_b32_e32 v6, s47, v8
	v_cmp_ne_u64_e32 vcc, 0, v[5:6]
                                        ; implicit-def: $vgpr5_vgpr6
	s_and_saveexec_b64 s[10:11], vcc
	s_xor_b64 s[14:15], exec, s[10:11]
	s_cbranch_execz .LBB8_19
; %bb.18:
	v_cvt_f32_u32_e32 v5, s46
	v_cvt_f32_u32_e32 v6, s47
	s_sub_u32 s16, 0, s46
	s_subb_u32 s17, 0, s47
	v_madmk_f32 v5, v6, 0x4f800000, v5
	v_rcp_f32_e32 v5, v5
	v_mul_f32_e32 v5, 0x5f7ffffc, v5
	v_mul_f32_e32 v6, 0x2f800000, v5
	v_trunc_f32_e32 v6, v6
	v_madmk_f32 v5, v6, 0xcf800000, v5
	v_cvt_u32_f32_e32 v6, v6
	v_cvt_u32_f32_e32 v5, v5
	v_readfirstlane_b32 s18, v6
	v_readfirstlane_b32 s10, v5
	s_mul_i32 s11, s16, s18
	s_mul_hi_u32 s20, s16, s10
	s_mul_i32 s19, s17, s10
	s_add_i32 s11, s20, s11
	s_mul_i32 s21, s16, s10
	s_add_i32 s11, s11, s19
	s_mul_i32 s20, s10, s11
	s_mul_hi_u32 s22, s10, s21
	s_mul_hi_u32 s19, s10, s11
	s_add_u32 s20, s22, s20
	s_addc_u32 s19, 0, s19
	s_mul_hi_u32 s23, s18, s21
	s_mul_i32 s21, s18, s21
	s_add_u32 s20, s20, s21
	s_mul_hi_u32 s22, s18, s11
	s_addc_u32 s19, s19, s23
	s_addc_u32 s20, s22, 0
	s_mul_i32 s11, s18, s11
	s_add_u32 s11, s19, s11
	s_addc_u32 s19, 0, s20
	s_add_u32 s20, s10, s11
	s_cselect_b64 s[10:11], -1, 0
	s_cmp_lg_u64 s[10:11], 0
	s_addc_u32 s18, s18, s19
	s_mul_i32 s10, s16, s18
	s_mul_hi_u32 s11, s16, s20
	s_add_i32 s10, s11, s10
	s_mul_i32 s17, s17, s20
	s_add_i32 s10, s10, s17
	s_mul_i32 s16, s16, s20
	s_mul_hi_u32 s17, s18, s16
	s_mul_i32 s19, s18, s16
	s_mul_i32 s22, s20, s10
	s_mul_hi_u32 s16, s20, s16
	s_mul_hi_u32 s21, s20, s10
	s_add_u32 s16, s16, s22
	s_addc_u32 s21, 0, s21
	s_add_u32 s16, s16, s19
	s_mul_hi_u32 s11, s18, s10
	s_addc_u32 s16, s21, s17
	s_addc_u32 s11, s11, 0
	s_mul_i32 s10, s18, s10
	s_add_u32 s10, s16, s10
	s_addc_u32 s16, 0, s11
	s_add_u32 s17, s20, s10
	s_cselect_b64 s[10:11], -1, 0
	s_cmp_lg_u64 s[10:11], 0
	s_addc_u32 s16, s18, s16
	v_mad_u64_u32 v[5:6], s[10:11], v7, s16, 0
	v_mul_hi_u32 v9, v7, s17
	v_add_co_u32_e32 v11, vcc, v9, v5
	v_addc_co_u32_e32 v12, vcc, 0, v6, vcc
	v_mad_u64_u32 v[5:6], s[10:11], v8, s17, 0
	v_mad_u64_u32 v[9:10], s[10:11], v8, s16, 0
	v_add_co_u32_e32 v5, vcc, v11, v5
	v_addc_co_u32_e32 v5, vcc, v12, v6, vcc
	v_addc_co_u32_e32 v6, vcc, 0, v10, vcc
	v_add_co_u32_e32 v9, vcc, v5, v9
	v_addc_co_u32_e32 v10, vcc, 0, v6, vcc
	v_mul_lo_u32 v11, s47, v9
	v_mul_lo_u32 v12, s46, v10
	v_mad_u64_u32 v[5:6], s[10:11], s46, v9, 0
	v_add3_u32 v6, v6, v12, v11
	v_sub_u32_e32 v11, v8, v6
	v_mov_b32_e32 v12, s47
	v_sub_co_u32_e32 v5, vcc, v7, v5
	v_subb_co_u32_e64 v7, s[10:11], v11, v12, vcc
	v_subrev_co_u32_e64 v11, s[10:11], s46, v5
	v_subbrev_co_u32_e64 v7, s[10:11], 0, v7, s[10:11]
	v_cmp_le_u32_e64 s[10:11], s47, v7
	v_cndmask_b32_e64 v12, 0, -1, s[10:11]
	v_cmp_le_u32_e64 s[10:11], s46, v11
	v_cndmask_b32_e64 v11, 0, -1, s[10:11]
	v_cmp_eq_u32_e64 s[10:11], s47, v7
	v_cndmask_b32_e64 v7, v12, v11, s[10:11]
	v_add_co_u32_e64 v11, s[10:11], 2, v9
	v_subb_co_u32_e32 v6, vcc, v8, v6, vcc
	v_addc_co_u32_e64 v12, s[10:11], 0, v10, s[10:11]
	v_cmp_le_u32_e32 vcc, s47, v6
	v_add_co_u32_e64 v13, s[10:11], 1, v9
	v_cndmask_b32_e64 v8, 0, -1, vcc
	v_cmp_le_u32_e32 vcc, s46, v5
	v_addc_co_u32_e64 v14, s[10:11], 0, v10, s[10:11]
	v_cndmask_b32_e64 v5, 0, -1, vcc
	v_cmp_eq_u32_e32 vcc, s47, v6
	v_cmp_ne_u32_e64 s[10:11], 0, v7
	v_cndmask_b32_e32 v5, v8, v5, vcc
	v_cndmask_b32_e64 v7, v14, v12, s[10:11]
	v_cmp_ne_u32_e32 vcc, 0, v5
	v_cndmask_b32_e64 v5, v13, v11, s[10:11]
	v_cndmask_b32_e32 v6, v10, v7, vcc
	v_cndmask_b32_e32 v5, v9, v5, vcc
                                        ; implicit-def: $vgpr7
.LBB8_19:
	s_andn2_saveexec_b64 s[10:11], s[14:15]
	s_cbranch_execz .LBB8_21
; %bb.20:
	v_cvt_f32_u32_e32 v5, s46
	s_sub_i32 s14, 0, s46
	v_rcp_iflag_f32_e32 v5, v5
	v_mul_f32_e32 v5, 0x4f7ffffe, v5
	v_cvt_u32_f32_e32 v5, v5
	v_mul_lo_u32 v6, s14, v5
	v_mul_hi_u32 v6, v5, v6
	v_add_u32_e32 v5, v5, v6
	v_mul_hi_u32 v5, v7, v5
	v_mul_lo_u32 v6, v5, s46
	v_add_u32_e32 v8, 1, v5
	v_sub_u32_e32 v6, v7, v6
	v_subrev_u32_e32 v7, s46, v6
	v_cmp_le_u32_e32 vcc, s46, v6
	v_cndmask_b32_e32 v6, v6, v7, vcc
	v_cndmask_b32_e32 v5, v5, v8, vcc
	v_add_u32_e32 v7, 1, v5
	v_cmp_le_u32_e32 vcc, s46, v6
	v_cndmask_b32_e32 v5, v5, v7, vcc
	v_mov_b32_e32 v6, 0
.LBB8_21:
	s_or_b64 exec, exec, s[10:11]
.LBB8_22:
	s_or_b64 exec, exec, s[12:13]
	v_or_b32_e32 v9, 0x300, v0
	v_mov_b32_e32 v7, s60
	v_cmp_gt_u32_e64 s[10:11], s66, v9
	v_mov_b32_e32 v8, s61
	s_and_saveexec_b64 s[14:15], s[10:11]
	s_cbranch_execz .LBB8_28
; %bb.23:
	v_mov_b32_e32 v8, s45
	v_add_co_u32_e32 v9, vcc, s44, v9
	v_addc_co_u32_e32 v10, vcc, 0, v8, vcc
	v_mov_b32_e32 v7, 0
	v_or_b32_e32 v8, s47, v10
	v_cmp_ne_u64_e32 vcc, 0, v[7:8]
                                        ; implicit-def: $vgpr7_vgpr8
	s_and_saveexec_b64 s[12:13], vcc
	s_xor_b64 s[16:17], exec, s[12:13]
	s_cbranch_execz .LBB8_25
; %bb.24:
	v_cvt_f32_u32_e32 v7, s46
	v_cvt_f32_u32_e32 v8, s47
	s_sub_u32 s18, 0, s46
	s_subb_u32 s19, 0, s47
	v_madmk_f32 v7, v8, 0x4f800000, v7
	v_rcp_f32_e32 v7, v7
	v_mul_f32_e32 v7, 0x5f7ffffc, v7
	v_mul_f32_e32 v8, 0x2f800000, v7
	v_trunc_f32_e32 v8, v8
	v_madmk_f32 v7, v8, 0xcf800000, v7
	v_cvt_u32_f32_e32 v8, v8
	v_cvt_u32_f32_e32 v7, v7
	v_readfirstlane_b32 s20, v8
	v_readfirstlane_b32 s12, v7
	s_mul_i32 s13, s18, s20
	s_mul_hi_u32 s22, s18, s12
	s_mul_i32 s21, s19, s12
	s_add_i32 s13, s22, s13
	s_mul_i32 s23, s18, s12
	s_add_i32 s13, s13, s21
	s_mul_i32 s22, s12, s13
	s_mul_hi_u32 s24, s12, s23
	s_mul_hi_u32 s21, s12, s13
	s_add_u32 s22, s24, s22
	s_addc_u32 s21, 0, s21
	s_mul_hi_u32 s25, s20, s23
	s_mul_i32 s23, s20, s23
	s_add_u32 s22, s22, s23
	s_mul_hi_u32 s24, s20, s13
	s_addc_u32 s21, s21, s25
	s_addc_u32 s22, s24, 0
	s_mul_i32 s13, s20, s13
	s_add_u32 s13, s21, s13
	s_addc_u32 s21, 0, s22
	s_add_u32 s22, s12, s13
	s_cselect_b64 s[12:13], -1, 0
	s_cmp_lg_u64 s[12:13], 0
	s_addc_u32 s20, s20, s21
	s_mul_i32 s12, s18, s20
	s_mul_hi_u32 s13, s18, s22
	s_add_i32 s12, s13, s12
	s_mul_i32 s19, s19, s22
	s_add_i32 s12, s12, s19
	s_mul_i32 s18, s18, s22
	s_mul_hi_u32 s19, s20, s18
	s_mul_i32 s21, s20, s18
	s_mul_i32 s24, s22, s12
	s_mul_hi_u32 s18, s22, s18
	s_mul_hi_u32 s23, s22, s12
	s_add_u32 s18, s18, s24
	s_addc_u32 s23, 0, s23
	s_add_u32 s18, s18, s21
	s_mul_hi_u32 s13, s20, s12
	s_addc_u32 s18, s23, s19
	s_addc_u32 s13, s13, 0
	s_mul_i32 s12, s20, s12
	s_add_u32 s12, s18, s12
	s_addc_u32 s18, 0, s13
	s_add_u32 s19, s22, s12
	s_cselect_b64 s[12:13], -1, 0
	s_cmp_lg_u64 s[12:13], 0
	s_addc_u32 s18, s20, s18
	v_mad_u64_u32 v[7:8], s[12:13], v9, s18, 0
	v_mul_hi_u32 v11, v9, s19
	v_add_co_u32_e32 v13, vcc, v11, v7
	v_addc_co_u32_e32 v14, vcc, 0, v8, vcc
	v_mad_u64_u32 v[7:8], s[12:13], v10, s19, 0
	v_mad_u64_u32 v[11:12], s[12:13], v10, s18, 0
	v_add_co_u32_e32 v7, vcc, v13, v7
	v_addc_co_u32_e32 v7, vcc, v14, v8, vcc
	v_addc_co_u32_e32 v8, vcc, 0, v12, vcc
	v_add_co_u32_e32 v11, vcc, v7, v11
	v_addc_co_u32_e32 v12, vcc, 0, v8, vcc
	v_mul_lo_u32 v13, s47, v11
	v_mul_lo_u32 v14, s46, v12
	v_mad_u64_u32 v[7:8], s[12:13], s46, v11, 0
	v_add3_u32 v8, v8, v14, v13
	v_sub_u32_e32 v13, v10, v8
	v_mov_b32_e32 v14, s47
	v_sub_co_u32_e32 v7, vcc, v9, v7
	v_subb_co_u32_e64 v9, s[12:13], v13, v14, vcc
	v_subrev_co_u32_e64 v13, s[12:13], s46, v7
	v_subbrev_co_u32_e64 v9, s[12:13], 0, v9, s[12:13]
	v_cmp_le_u32_e64 s[12:13], s47, v9
	v_cndmask_b32_e64 v14, 0, -1, s[12:13]
	v_cmp_le_u32_e64 s[12:13], s46, v13
	v_cndmask_b32_e64 v13, 0, -1, s[12:13]
	v_cmp_eq_u32_e64 s[12:13], s47, v9
	v_cndmask_b32_e64 v9, v14, v13, s[12:13]
	v_add_co_u32_e64 v13, s[12:13], 2, v11
	v_subb_co_u32_e32 v8, vcc, v10, v8, vcc
	v_addc_co_u32_e64 v14, s[12:13], 0, v12, s[12:13]
	v_cmp_le_u32_e32 vcc, s47, v8
	v_add_co_u32_e64 v15, s[12:13], 1, v11
	v_cndmask_b32_e64 v10, 0, -1, vcc
	v_cmp_le_u32_e32 vcc, s46, v7
	v_addc_co_u32_e64 v16, s[12:13], 0, v12, s[12:13]
	v_cndmask_b32_e64 v7, 0, -1, vcc
	v_cmp_eq_u32_e32 vcc, s47, v8
	v_cmp_ne_u32_e64 s[12:13], 0, v9
	v_cndmask_b32_e32 v7, v10, v7, vcc
	v_cndmask_b32_e64 v9, v16, v14, s[12:13]
	v_cmp_ne_u32_e32 vcc, 0, v7
	v_cndmask_b32_e64 v7, v15, v13, s[12:13]
	v_cndmask_b32_e32 v8, v12, v9, vcc
	v_cndmask_b32_e32 v7, v11, v7, vcc
                                        ; implicit-def: $vgpr9
.LBB8_25:
	s_andn2_saveexec_b64 s[12:13], s[16:17]
	s_cbranch_execz .LBB8_27
; %bb.26:
	v_cvt_f32_u32_e32 v7, s46
	s_sub_i32 s16, 0, s46
	v_rcp_iflag_f32_e32 v7, v7
	v_mul_f32_e32 v7, 0x4f7ffffe, v7
	v_cvt_u32_f32_e32 v7, v7
	v_mul_lo_u32 v8, s16, v7
	v_mul_hi_u32 v8, v7, v8
	v_add_u32_e32 v7, v7, v8
	v_mul_hi_u32 v7, v9, v7
	v_mul_lo_u32 v8, v7, s46
	v_add_u32_e32 v10, 1, v7
	v_sub_u32_e32 v8, v9, v8
	v_subrev_u32_e32 v9, s46, v8
	v_cmp_le_u32_e32 vcc, s46, v8
	v_cndmask_b32_e32 v8, v8, v9, vcc
	v_cndmask_b32_e32 v7, v7, v10, vcc
	v_add_u32_e32 v9, 1, v7
	v_cmp_le_u32_e32 vcc, s46, v8
	v_cndmask_b32_e32 v7, v7, v9, vcc
	v_mov_b32_e32 v8, 0
.LBB8_27:
	s_or_b64 exec, exec, s[12:13]
.LBB8_28:
	s_or_b64 exec, exec, s[14:15]
	v_or_b32_e32 v29, 0x400, v0
	v_mov_b32_e32 v9, s60
	v_cmp_gt_u32_e64 s[12:13], s66, v29
	v_mov_b32_e32 v10, s61
	s_and_saveexec_b64 s[16:17], s[12:13]
	s_cbranch_execz .LBB8_34
; %bb.29:
	v_mov_b32_e32 v10, s45
	v_add_co_u32_e32 v11, vcc, s44, v29
	v_addc_co_u32_e32 v12, vcc, 0, v10, vcc
	v_mov_b32_e32 v9, 0
	v_or_b32_e32 v10, s47, v12
	v_cmp_ne_u64_e32 vcc, 0, v[9:10]
                                        ; implicit-def: $vgpr9_vgpr10
	s_and_saveexec_b64 s[14:15], vcc
	s_xor_b64 s[18:19], exec, s[14:15]
	s_cbranch_execz .LBB8_31
; %bb.30:
	v_cvt_f32_u32_e32 v9, s46
	v_cvt_f32_u32_e32 v10, s47
	s_sub_u32 s20, 0, s46
	s_subb_u32 s21, 0, s47
	v_madmk_f32 v9, v10, 0x4f800000, v9
	v_rcp_f32_e32 v9, v9
	v_mul_f32_e32 v9, 0x5f7ffffc, v9
	v_mul_f32_e32 v10, 0x2f800000, v9
	v_trunc_f32_e32 v10, v10
	v_madmk_f32 v9, v10, 0xcf800000, v9
	v_cvt_u32_f32_e32 v10, v10
	v_cvt_u32_f32_e32 v9, v9
	v_readfirstlane_b32 s22, v10
	v_readfirstlane_b32 s14, v9
	s_mul_i32 s15, s20, s22
	s_mul_hi_u32 s24, s20, s14
	s_mul_i32 s23, s21, s14
	s_add_i32 s15, s24, s15
	s_mul_i32 s25, s20, s14
	s_add_i32 s15, s15, s23
	s_mul_i32 s24, s14, s15
	s_mul_hi_u32 s26, s14, s25
	s_mul_hi_u32 s23, s14, s15
	s_add_u32 s24, s26, s24
	s_addc_u32 s23, 0, s23
	s_mul_hi_u32 s27, s22, s25
	s_mul_i32 s25, s22, s25
	s_add_u32 s24, s24, s25
	s_mul_hi_u32 s26, s22, s15
	s_addc_u32 s23, s23, s27
	s_addc_u32 s24, s26, 0
	s_mul_i32 s15, s22, s15
	s_add_u32 s15, s23, s15
	s_addc_u32 s23, 0, s24
	s_add_u32 s24, s14, s15
	s_cselect_b64 s[14:15], -1, 0
	s_cmp_lg_u64 s[14:15], 0
	s_addc_u32 s22, s22, s23
	s_mul_i32 s14, s20, s22
	s_mul_hi_u32 s15, s20, s24
	s_add_i32 s14, s15, s14
	s_mul_i32 s21, s21, s24
	s_add_i32 s14, s14, s21
	s_mul_i32 s20, s20, s24
	s_mul_hi_u32 s21, s22, s20
	s_mul_i32 s23, s22, s20
	s_mul_i32 s26, s24, s14
	s_mul_hi_u32 s20, s24, s20
	s_mul_hi_u32 s25, s24, s14
	s_add_u32 s20, s20, s26
	s_addc_u32 s25, 0, s25
	s_add_u32 s20, s20, s23
	s_mul_hi_u32 s15, s22, s14
	s_addc_u32 s20, s25, s21
	s_addc_u32 s15, s15, 0
	s_mul_i32 s14, s22, s14
	s_add_u32 s14, s20, s14
	s_addc_u32 s20, 0, s15
	s_add_u32 s21, s24, s14
	s_cselect_b64 s[14:15], -1, 0
	s_cmp_lg_u64 s[14:15], 0
	s_addc_u32 s20, s22, s20
	v_mad_u64_u32 v[9:10], s[14:15], v11, s20, 0
	v_mul_hi_u32 v13, v11, s21
	v_add_co_u32_e32 v15, vcc, v13, v9
	v_addc_co_u32_e32 v16, vcc, 0, v10, vcc
	v_mad_u64_u32 v[9:10], s[14:15], v12, s21, 0
	v_mad_u64_u32 v[13:14], s[14:15], v12, s20, 0
	v_add_co_u32_e32 v9, vcc, v15, v9
	v_addc_co_u32_e32 v9, vcc, v16, v10, vcc
	v_addc_co_u32_e32 v10, vcc, 0, v14, vcc
	v_add_co_u32_e32 v13, vcc, v9, v13
	v_addc_co_u32_e32 v14, vcc, 0, v10, vcc
	v_mul_lo_u32 v15, s47, v13
	v_mul_lo_u32 v16, s46, v14
	v_mad_u64_u32 v[9:10], s[14:15], s46, v13, 0
	v_add3_u32 v10, v10, v16, v15
	v_sub_u32_e32 v15, v12, v10
	v_mov_b32_e32 v16, s47
	v_sub_co_u32_e32 v9, vcc, v11, v9
	v_subb_co_u32_e64 v11, s[14:15], v15, v16, vcc
	v_subrev_co_u32_e64 v15, s[14:15], s46, v9
	v_subbrev_co_u32_e64 v11, s[14:15], 0, v11, s[14:15]
	v_cmp_le_u32_e64 s[14:15], s47, v11
	v_cndmask_b32_e64 v16, 0, -1, s[14:15]
	v_cmp_le_u32_e64 s[14:15], s46, v15
	v_cndmask_b32_e64 v15, 0, -1, s[14:15]
	v_cmp_eq_u32_e64 s[14:15], s47, v11
	v_cndmask_b32_e64 v11, v16, v15, s[14:15]
	v_add_co_u32_e64 v15, s[14:15], 2, v13
	v_subb_co_u32_e32 v10, vcc, v12, v10, vcc
	v_addc_co_u32_e64 v16, s[14:15], 0, v14, s[14:15]
	v_cmp_le_u32_e32 vcc, s47, v10
	v_add_co_u32_e64 v17, s[14:15], 1, v13
	v_cndmask_b32_e64 v12, 0, -1, vcc
	v_cmp_le_u32_e32 vcc, s46, v9
	v_addc_co_u32_e64 v18, s[14:15], 0, v14, s[14:15]
	v_cndmask_b32_e64 v9, 0, -1, vcc
	v_cmp_eq_u32_e32 vcc, s47, v10
	v_cmp_ne_u32_e64 s[14:15], 0, v11
	v_cndmask_b32_e32 v9, v12, v9, vcc
	v_cndmask_b32_e64 v11, v18, v16, s[14:15]
	v_cmp_ne_u32_e32 vcc, 0, v9
	v_cndmask_b32_e64 v9, v17, v15, s[14:15]
	v_cndmask_b32_e32 v10, v14, v11, vcc
	v_cndmask_b32_e32 v9, v13, v9, vcc
                                        ; implicit-def: $vgpr11
.LBB8_31:
	s_andn2_saveexec_b64 s[14:15], s[18:19]
	s_cbranch_execz .LBB8_33
; %bb.32:
	v_cvt_f32_u32_e32 v9, s46
	s_sub_i32 s18, 0, s46
	v_rcp_iflag_f32_e32 v9, v9
	v_mul_f32_e32 v9, 0x4f7ffffe, v9
	v_cvt_u32_f32_e32 v9, v9
	v_mul_lo_u32 v10, s18, v9
	v_mul_hi_u32 v10, v9, v10
	v_add_u32_e32 v9, v9, v10
	v_mul_hi_u32 v9, v11, v9
	v_mul_lo_u32 v10, v9, s46
	v_add_u32_e32 v12, 1, v9
	v_sub_u32_e32 v10, v11, v10
	v_subrev_u32_e32 v11, s46, v10
	v_cmp_le_u32_e32 vcc, s46, v10
	v_cndmask_b32_e32 v10, v10, v11, vcc
	v_cndmask_b32_e32 v9, v9, v12, vcc
	v_add_u32_e32 v11, 1, v9
	v_cmp_le_u32_e32 vcc, s46, v10
	v_cndmask_b32_e32 v9, v9, v11, vcc
	v_mov_b32_e32 v10, 0
.LBB8_33:
	s_or_b64 exec, exec, s[14:15]
.LBB8_34:
	s_or_b64 exec, exec, s[16:17]
	v_or_b32_e32 v30, 0x500, v0
	v_mov_b32_e32 v11, s60
	v_cmp_gt_u32_e64 s[14:15], s66, v30
	v_mov_b32_e32 v12, s61
	s_and_saveexec_b64 s[18:19], s[14:15]
	s_cbranch_execz .LBB8_40
; %bb.35:
	v_mov_b32_e32 v12, s45
	v_add_co_u32_e32 v13, vcc, s44, v30
	v_addc_co_u32_e32 v14, vcc, 0, v12, vcc
	v_mov_b32_e32 v11, 0
	v_or_b32_e32 v12, s47, v14
	v_cmp_ne_u64_e32 vcc, 0, v[11:12]
                                        ; implicit-def: $vgpr11_vgpr12
	s_and_saveexec_b64 s[16:17], vcc
	s_xor_b64 s[20:21], exec, s[16:17]
	s_cbranch_execz .LBB8_37
; %bb.36:
	v_cvt_f32_u32_e32 v11, s46
	v_cvt_f32_u32_e32 v12, s47
	s_sub_u32 s22, 0, s46
	s_subb_u32 s23, 0, s47
	v_madmk_f32 v11, v12, 0x4f800000, v11
	v_rcp_f32_e32 v11, v11
	v_mul_f32_e32 v11, 0x5f7ffffc, v11
	v_mul_f32_e32 v12, 0x2f800000, v11
	v_trunc_f32_e32 v12, v12
	v_madmk_f32 v11, v12, 0xcf800000, v11
	v_cvt_u32_f32_e32 v12, v12
	v_cvt_u32_f32_e32 v11, v11
	v_readfirstlane_b32 s24, v12
	v_readfirstlane_b32 s16, v11
	s_mul_i32 s17, s22, s24
	s_mul_hi_u32 s26, s22, s16
	s_mul_i32 s25, s23, s16
	s_add_i32 s17, s26, s17
	s_mul_i32 s27, s22, s16
	s_add_i32 s17, s17, s25
	s_mul_i32 s26, s16, s17
	s_mul_hi_u32 s28, s16, s27
	s_mul_hi_u32 s25, s16, s17
	s_add_u32 s26, s28, s26
	s_addc_u32 s25, 0, s25
	s_mul_hi_u32 s29, s24, s27
	s_mul_i32 s27, s24, s27
	s_add_u32 s26, s26, s27
	s_mul_hi_u32 s28, s24, s17
	s_addc_u32 s25, s25, s29
	s_addc_u32 s26, s28, 0
	s_mul_i32 s17, s24, s17
	s_add_u32 s17, s25, s17
	s_addc_u32 s25, 0, s26
	s_add_u32 s26, s16, s17
	s_cselect_b64 s[16:17], -1, 0
	s_cmp_lg_u64 s[16:17], 0
	s_addc_u32 s24, s24, s25
	s_mul_i32 s16, s22, s24
	s_mul_hi_u32 s17, s22, s26
	s_add_i32 s16, s17, s16
	s_mul_i32 s23, s23, s26
	s_add_i32 s16, s16, s23
	s_mul_i32 s22, s22, s26
	s_mul_hi_u32 s23, s24, s22
	s_mul_i32 s25, s24, s22
	s_mul_i32 s28, s26, s16
	s_mul_hi_u32 s22, s26, s22
	s_mul_hi_u32 s27, s26, s16
	s_add_u32 s22, s22, s28
	s_addc_u32 s27, 0, s27
	s_add_u32 s22, s22, s25
	s_mul_hi_u32 s17, s24, s16
	s_addc_u32 s22, s27, s23
	s_addc_u32 s17, s17, 0
	s_mul_i32 s16, s24, s16
	s_add_u32 s16, s22, s16
	s_addc_u32 s22, 0, s17
	s_add_u32 s23, s26, s16
	s_cselect_b64 s[16:17], -1, 0
	s_cmp_lg_u64 s[16:17], 0
	s_addc_u32 s22, s24, s22
	v_mad_u64_u32 v[11:12], s[16:17], v13, s22, 0
	v_mul_hi_u32 v15, v13, s23
	v_add_co_u32_e32 v17, vcc, v15, v11
	v_addc_co_u32_e32 v18, vcc, 0, v12, vcc
	v_mad_u64_u32 v[11:12], s[16:17], v14, s23, 0
	v_mad_u64_u32 v[15:16], s[16:17], v14, s22, 0
	v_add_co_u32_e32 v11, vcc, v17, v11
	v_addc_co_u32_e32 v11, vcc, v18, v12, vcc
	v_addc_co_u32_e32 v12, vcc, 0, v16, vcc
	v_add_co_u32_e32 v15, vcc, v11, v15
	v_addc_co_u32_e32 v16, vcc, 0, v12, vcc
	v_mul_lo_u32 v17, s47, v15
	v_mul_lo_u32 v18, s46, v16
	v_mad_u64_u32 v[11:12], s[16:17], s46, v15, 0
	v_add3_u32 v12, v12, v18, v17
	v_sub_u32_e32 v17, v14, v12
	v_mov_b32_e32 v18, s47
	v_sub_co_u32_e32 v11, vcc, v13, v11
	v_subb_co_u32_e64 v13, s[16:17], v17, v18, vcc
	v_subrev_co_u32_e64 v17, s[16:17], s46, v11
	v_subbrev_co_u32_e64 v13, s[16:17], 0, v13, s[16:17]
	v_cmp_le_u32_e64 s[16:17], s47, v13
	v_cndmask_b32_e64 v18, 0, -1, s[16:17]
	v_cmp_le_u32_e64 s[16:17], s46, v17
	v_cndmask_b32_e64 v17, 0, -1, s[16:17]
	v_cmp_eq_u32_e64 s[16:17], s47, v13
	v_cndmask_b32_e64 v13, v18, v17, s[16:17]
	v_add_co_u32_e64 v17, s[16:17], 2, v15
	v_subb_co_u32_e32 v12, vcc, v14, v12, vcc
	v_addc_co_u32_e64 v18, s[16:17], 0, v16, s[16:17]
	v_cmp_le_u32_e32 vcc, s47, v12
	v_add_co_u32_e64 v19, s[16:17], 1, v15
	v_cndmask_b32_e64 v14, 0, -1, vcc
	v_cmp_le_u32_e32 vcc, s46, v11
	v_addc_co_u32_e64 v20, s[16:17], 0, v16, s[16:17]
	v_cndmask_b32_e64 v11, 0, -1, vcc
	v_cmp_eq_u32_e32 vcc, s47, v12
	v_cmp_ne_u32_e64 s[16:17], 0, v13
	v_cndmask_b32_e32 v11, v14, v11, vcc
	v_cndmask_b32_e64 v13, v20, v18, s[16:17]
	v_cmp_ne_u32_e32 vcc, 0, v11
	v_cndmask_b32_e64 v11, v19, v17, s[16:17]
	v_cndmask_b32_e32 v12, v16, v13, vcc
	v_cndmask_b32_e32 v11, v15, v11, vcc
                                        ; implicit-def: $vgpr13
.LBB8_37:
	s_andn2_saveexec_b64 s[16:17], s[20:21]
	s_cbranch_execz .LBB8_39
; %bb.38:
	v_cvt_f32_u32_e32 v11, s46
	s_sub_i32 s20, 0, s46
	v_rcp_iflag_f32_e32 v11, v11
	v_mul_f32_e32 v11, 0x4f7ffffe, v11
	v_cvt_u32_f32_e32 v11, v11
	v_mul_lo_u32 v12, s20, v11
	v_mul_hi_u32 v12, v11, v12
	v_add_u32_e32 v11, v11, v12
	v_mul_hi_u32 v11, v13, v11
	v_mul_lo_u32 v12, v11, s46
	v_add_u32_e32 v14, 1, v11
	v_sub_u32_e32 v12, v13, v12
	v_subrev_u32_e32 v13, s46, v12
	v_cmp_le_u32_e32 vcc, s46, v12
	v_cndmask_b32_e32 v12, v12, v13, vcc
	v_cndmask_b32_e32 v11, v11, v14, vcc
	v_add_u32_e32 v13, 1, v11
	v_cmp_le_u32_e32 vcc, s46, v12
	v_cndmask_b32_e32 v11, v11, v13, vcc
	v_mov_b32_e32 v12, 0
.LBB8_39:
	s_or_b64 exec, exec, s[16:17]
.LBB8_40:
	s_or_b64 exec, exec, s[18:19]
	v_or_b32_e32 v31, 0x600, v0
	v_mov_b32_e32 v13, s60
	v_cmp_gt_u32_e64 s[16:17], s66, v31
	v_mov_b32_e32 v14, s61
	s_and_saveexec_b64 s[20:21], s[16:17]
	s_cbranch_execz .LBB8_46
; %bb.41:
	v_mov_b32_e32 v14, s45
	v_add_co_u32_e32 v15, vcc, s44, v31
	v_addc_co_u32_e32 v16, vcc, 0, v14, vcc
	v_mov_b32_e32 v13, 0
	v_or_b32_e32 v14, s47, v16
	v_cmp_ne_u64_e32 vcc, 0, v[13:14]
                                        ; implicit-def: $vgpr13_vgpr14
	s_and_saveexec_b64 s[18:19], vcc
	s_xor_b64 s[22:23], exec, s[18:19]
	s_cbranch_execz .LBB8_43
; %bb.42:
	v_cvt_f32_u32_e32 v13, s46
	v_cvt_f32_u32_e32 v14, s47
	s_sub_u32 s24, 0, s46
	s_subb_u32 s25, 0, s47
	v_madmk_f32 v13, v14, 0x4f800000, v13
	v_rcp_f32_e32 v13, v13
	v_mul_f32_e32 v13, 0x5f7ffffc, v13
	v_mul_f32_e32 v14, 0x2f800000, v13
	v_trunc_f32_e32 v14, v14
	v_madmk_f32 v13, v14, 0xcf800000, v13
	v_cvt_u32_f32_e32 v14, v14
	v_cvt_u32_f32_e32 v13, v13
	v_readfirstlane_b32 s26, v14
	v_readfirstlane_b32 s18, v13
	s_mul_i32 s19, s24, s26
	s_mul_hi_u32 s28, s24, s18
	s_mul_i32 s27, s25, s18
	s_add_i32 s19, s28, s19
	s_mul_i32 s29, s24, s18
	s_add_i32 s19, s19, s27
	s_mul_i32 s28, s18, s19
	s_mul_hi_u32 s30, s18, s29
	s_mul_hi_u32 s27, s18, s19
	s_add_u32 s28, s30, s28
	s_addc_u32 s27, 0, s27
	s_mul_hi_u32 s31, s26, s29
	s_mul_i32 s29, s26, s29
	s_add_u32 s28, s28, s29
	s_mul_hi_u32 s30, s26, s19
	s_addc_u32 s27, s27, s31
	s_addc_u32 s28, s30, 0
	s_mul_i32 s19, s26, s19
	s_add_u32 s19, s27, s19
	s_addc_u32 s27, 0, s28
	s_add_u32 s28, s18, s19
	s_cselect_b64 s[18:19], -1, 0
	s_cmp_lg_u64 s[18:19], 0
	s_addc_u32 s26, s26, s27
	s_mul_i32 s18, s24, s26
	s_mul_hi_u32 s19, s24, s28
	s_add_i32 s18, s19, s18
	s_mul_i32 s25, s25, s28
	s_add_i32 s18, s18, s25
	s_mul_i32 s24, s24, s28
	s_mul_hi_u32 s25, s26, s24
	s_mul_i32 s27, s26, s24
	s_mul_i32 s30, s28, s18
	s_mul_hi_u32 s24, s28, s24
	s_mul_hi_u32 s29, s28, s18
	s_add_u32 s24, s24, s30
	s_addc_u32 s29, 0, s29
	s_add_u32 s24, s24, s27
	s_mul_hi_u32 s19, s26, s18
	s_addc_u32 s24, s29, s25
	s_addc_u32 s19, s19, 0
	s_mul_i32 s18, s26, s18
	s_add_u32 s18, s24, s18
	s_addc_u32 s24, 0, s19
	s_add_u32 s25, s28, s18
	s_cselect_b64 s[18:19], -1, 0
	s_cmp_lg_u64 s[18:19], 0
	s_addc_u32 s24, s26, s24
	v_mad_u64_u32 v[13:14], s[18:19], v15, s24, 0
	v_mul_hi_u32 v17, v15, s25
	v_add_co_u32_e32 v19, vcc, v17, v13
	v_addc_co_u32_e32 v20, vcc, 0, v14, vcc
	v_mad_u64_u32 v[13:14], s[18:19], v16, s25, 0
	v_mad_u64_u32 v[17:18], s[18:19], v16, s24, 0
	v_add_co_u32_e32 v13, vcc, v19, v13
	v_addc_co_u32_e32 v13, vcc, v20, v14, vcc
	v_addc_co_u32_e32 v14, vcc, 0, v18, vcc
	v_add_co_u32_e32 v17, vcc, v13, v17
	v_addc_co_u32_e32 v18, vcc, 0, v14, vcc
	v_mul_lo_u32 v19, s47, v17
	v_mul_lo_u32 v20, s46, v18
	v_mad_u64_u32 v[13:14], s[18:19], s46, v17, 0
	v_add3_u32 v14, v14, v20, v19
	v_sub_u32_e32 v19, v16, v14
	v_mov_b32_e32 v20, s47
	v_sub_co_u32_e32 v13, vcc, v15, v13
	v_subb_co_u32_e64 v15, s[18:19], v19, v20, vcc
	v_subrev_co_u32_e64 v19, s[18:19], s46, v13
	v_subbrev_co_u32_e64 v15, s[18:19], 0, v15, s[18:19]
	v_cmp_le_u32_e64 s[18:19], s47, v15
	v_cndmask_b32_e64 v20, 0, -1, s[18:19]
	v_cmp_le_u32_e64 s[18:19], s46, v19
	v_cndmask_b32_e64 v19, 0, -1, s[18:19]
	v_cmp_eq_u32_e64 s[18:19], s47, v15
	v_cndmask_b32_e64 v15, v20, v19, s[18:19]
	v_add_co_u32_e64 v19, s[18:19], 2, v17
	v_subb_co_u32_e32 v14, vcc, v16, v14, vcc
	v_addc_co_u32_e64 v20, s[18:19], 0, v18, s[18:19]
	v_cmp_le_u32_e32 vcc, s47, v14
	v_add_co_u32_e64 v21, s[18:19], 1, v17
	v_cndmask_b32_e64 v16, 0, -1, vcc
	v_cmp_le_u32_e32 vcc, s46, v13
	v_addc_co_u32_e64 v22, s[18:19], 0, v18, s[18:19]
	v_cndmask_b32_e64 v13, 0, -1, vcc
	v_cmp_eq_u32_e32 vcc, s47, v14
	v_cmp_ne_u32_e64 s[18:19], 0, v15
	v_cndmask_b32_e32 v13, v16, v13, vcc
	v_cndmask_b32_e64 v15, v22, v20, s[18:19]
	v_cmp_ne_u32_e32 vcc, 0, v13
	v_cndmask_b32_e64 v13, v21, v19, s[18:19]
	v_cndmask_b32_e32 v14, v18, v15, vcc
	v_cndmask_b32_e32 v13, v17, v13, vcc
                                        ; implicit-def: $vgpr15
.LBB8_43:
	s_andn2_saveexec_b64 s[18:19], s[22:23]
	s_cbranch_execz .LBB8_45
; %bb.44:
	v_cvt_f32_u32_e32 v13, s46
	s_sub_i32 s22, 0, s46
	v_rcp_iflag_f32_e32 v13, v13
	v_mul_f32_e32 v13, 0x4f7ffffe, v13
	v_cvt_u32_f32_e32 v13, v13
	v_mul_lo_u32 v14, s22, v13
	v_mul_hi_u32 v14, v13, v14
	v_add_u32_e32 v13, v13, v14
	v_mul_hi_u32 v13, v15, v13
	v_mul_lo_u32 v14, v13, s46
	v_add_u32_e32 v16, 1, v13
	v_sub_u32_e32 v14, v15, v14
	v_subrev_u32_e32 v15, s46, v14
	v_cmp_le_u32_e32 vcc, s46, v14
	v_cndmask_b32_e32 v14, v14, v15, vcc
	v_cndmask_b32_e32 v13, v13, v16, vcc
	v_add_u32_e32 v15, 1, v13
	v_cmp_le_u32_e32 vcc, s46, v14
	v_cndmask_b32_e32 v13, v13, v15, vcc
	v_mov_b32_e32 v14, 0
.LBB8_45:
	s_or_b64 exec, exec, s[18:19]
.LBB8_46:
	s_or_b64 exec, exec, s[20:21]
	v_or_b32_e32 v32, 0x700, v0
	v_mov_b32_e32 v15, s60
	v_cmp_gt_u32_e64 s[18:19], s66, v32
	v_mov_b32_e32 v16, s61
	s_and_saveexec_b64 s[22:23], s[18:19]
	s_cbranch_execz .LBB8_52
; %bb.47:
	v_mov_b32_e32 v16, s45
	v_add_co_u32_e32 v17, vcc, s44, v32
	v_addc_co_u32_e32 v18, vcc, 0, v16, vcc
	v_mov_b32_e32 v15, 0
	v_or_b32_e32 v16, s47, v18
	v_cmp_ne_u64_e32 vcc, 0, v[15:16]
                                        ; implicit-def: $vgpr15_vgpr16
	s_and_saveexec_b64 s[20:21], vcc
	s_xor_b64 s[24:25], exec, s[20:21]
	s_cbranch_execz .LBB8_49
; %bb.48:
	v_cvt_f32_u32_e32 v15, s46
	v_cvt_f32_u32_e32 v16, s47
	s_sub_u32 s26, 0, s46
	s_subb_u32 s27, 0, s47
	v_madmk_f32 v15, v16, 0x4f800000, v15
	v_rcp_f32_e32 v15, v15
	v_mul_f32_e32 v15, 0x5f7ffffc, v15
	v_mul_f32_e32 v16, 0x2f800000, v15
	v_trunc_f32_e32 v16, v16
	v_madmk_f32 v15, v16, 0xcf800000, v15
	v_cvt_u32_f32_e32 v16, v16
	v_cvt_u32_f32_e32 v15, v15
	v_readfirstlane_b32 s28, v16
	v_readfirstlane_b32 s20, v15
	s_mul_i32 s21, s26, s28
	s_mul_hi_u32 s30, s26, s20
	s_mul_i32 s29, s27, s20
	s_add_i32 s21, s30, s21
	s_mul_i32 s31, s26, s20
	s_add_i32 s21, s21, s29
	s_mul_i32 s30, s20, s21
	s_mul_hi_u32 s36, s20, s31
	s_mul_hi_u32 s29, s20, s21
	s_add_u32 s30, s36, s30
	s_addc_u32 s29, 0, s29
	s_mul_hi_u32 s37, s28, s31
	s_mul_i32 s31, s28, s31
	s_add_u32 s30, s30, s31
	s_mul_hi_u32 s36, s28, s21
	s_addc_u32 s29, s29, s37
	s_addc_u32 s30, s36, 0
	s_mul_i32 s21, s28, s21
	s_add_u32 s21, s29, s21
	s_addc_u32 s29, 0, s30
	s_add_u32 s30, s20, s21
	s_cselect_b64 s[20:21], -1, 0
	s_cmp_lg_u64 s[20:21], 0
	s_addc_u32 s28, s28, s29
	s_mul_i32 s20, s26, s28
	s_mul_hi_u32 s21, s26, s30
	s_add_i32 s20, s21, s20
	s_mul_i32 s27, s27, s30
	s_add_i32 s20, s20, s27
	s_mul_i32 s26, s26, s30
	s_mul_hi_u32 s27, s28, s26
	s_mul_i32 s29, s28, s26
	s_mul_i32 s36, s30, s20
	s_mul_hi_u32 s26, s30, s26
	s_mul_hi_u32 s31, s30, s20
	s_add_u32 s26, s26, s36
	s_addc_u32 s31, 0, s31
	s_add_u32 s26, s26, s29
	s_mul_hi_u32 s21, s28, s20
	s_addc_u32 s26, s31, s27
	s_addc_u32 s21, s21, 0
	s_mul_i32 s20, s28, s20
	s_add_u32 s20, s26, s20
	s_addc_u32 s26, 0, s21
	s_add_u32 s27, s30, s20
	s_cselect_b64 s[20:21], -1, 0
	s_cmp_lg_u64 s[20:21], 0
	s_addc_u32 s26, s28, s26
	v_mad_u64_u32 v[15:16], s[20:21], v17, s26, 0
	v_mul_hi_u32 v19, v17, s27
	v_add_co_u32_e32 v21, vcc, v19, v15
	v_addc_co_u32_e32 v22, vcc, 0, v16, vcc
	v_mad_u64_u32 v[15:16], s[20:21], v18, s27, 0
	v_mad_u64_u32 v[19:20], s[20:21], v18, s26, 0
	v_add_co_u32_e32 v15, vcc, v21, v15
	v_addc_co_u32_e32 v15, vcc, v22, v16, vcc
	v_addc_co_u32_e32 v16, vcc, 0, v20, vcc
	v_add_co_u32_e32 v19, vcc, v15, v19
	v_addc_co_u32_e32 v20, vcc, 0, v16, vcc
	v_mul_lo_u32 v21, s47, v19
	v_mul_lo_u32 v22, s46, v20
	v_mad_u64_u32 v[15:16], s[20:21], s46, v19, 0
	v_add3_u32 v16, v16, v22, v21
	v_sub_u32_e32 v21, v18, v16
	v_mov_b32_e32 v22, s47
	v_sub_co_u32_e32 v15, vcc, v17, v15
	v_subb_co_u32_e64 v17, s[20:21], v21, v22, vcc
	v_subrev_co_u32_e64 v21, s[20:21], s46, v15
	v_subbrev_co_u32_e64 v17, s[20:21], 0, v17, s[20:21]
	v_cmp_le_u32_e64 s[20:21], s47, v17
	v_cndmask_b32_e64 v22, 0, -1, s[20:21]
	v_cmp_le_u32_e64 s[20:21], s46, v21
	v_cndmask_b32_e64 v21, 0, -1, s[20:21]
	v_cmp_eq_u32_e64 s[20:21], s47, v17
	v_cndmask_b32_e64 v17, v22, v21, s[20:21]
	v_add_co_u32_e64 v21, s[20:21], 2, v19
	v_subb_co_u32_e32 v16, vcc, v18, v16, vcc
	v_addc_co_u32_e64 v22, s[20:21], 0, v20, s[20:21]
	v_cmp_le_u32_e32 vcc, s47, v16
	v_add_co_u32_e64 v23, s[20:21], 1, v19
	v_cndmask_b32_e64 v18, 0, -1, vcc
	v_cmp_le_u32_e32 vcc, s46, v15
	v_addc_co_u32_e64 v24, s[20:21], 0, v20, s[20:21]
	v_cndmask_b32_e64 v15, 0, -1, vcc
	v_cmp_eq_u32_e32 vcc, s47, v16
	v_cmp_ne_u32_e64 s[20:21], 0, v17
	v_cndmask_b32_e32 v15, v18, v15, vcc
	v_cndmask_b32_e64 v17, v24, v22, s[20:21]
	v_cmp_ne_u32_e32 vcc, 0, v15
	v_cndmask_b32_e64 v15, v23, v21, s[20:21]
	v_cndmask_b32_e32 v16, v20, v17, vcc
	v_cndmask_b32_e32 v15, v19, v15, vcc
                                        ; implicit-def: $vgpr17
.LBB8_49:
	s_andn2_saveexec_b64 s[20:21], s[24:25]
	s_cbranch_execz .LBB8_51
; %bb.50:
	v_cvt_f32_u32_e32 v15, s46
	s_sub_i32 s24, 0, s46
	v_rcp_iflag_f32_e32 v15, v15
	v_mul_f32_e32 v15, 0x4f7ffffe, v15
	v_cvt_u32_f32_e32 v15, v15
	v_mul_lo_u32 v16, s24, v15
	v_mul_hi_u32 v16, v15, v16
	v_add_u32_e32 v15, v15, v16
	v_mul_hi_u32 v15, v17, v15
	v_mul_lo_u32 v16, v15, s46
	v_add_u32_e32 v18, 1, v15
	v_sub_u32_e32 v16, v17, v16
	v_subrev_u32_e32 v17, s46, v16
	v_cmp_le_u32_e32 vcc, s46, v16
	v_cndmask_b32_e32 v16, v16, v17, vcc
	v_cndmask_b32_e32 v15, v15, v18, vcc
	v_add_u32_e32 v17, 1, v15
	v_cmp_le_u32_e32 vcc, s46, v16
	v_cndmask_b32_e32 v15, v15, v17, vcc
	v_mov_b32_e32 v16, 0
.LBB8_51:
	s_or_b64 exec, exec, s[20:21]
.LBB8_52:
	s_or_b64 exec, exec, s[22:23]
	v_or_b32_e32 v33, 0x800, v0
	v_mov_b32_e32 v17, s60
	v_cmp_gt_u32_e64 s[20:21], s66, v33
	v_mov_b32_e32 v18, s61
	s_and_saveexec_b64 s[24:25], s[20:21]
	s_cbranch_execz .LBB8_58
; %bb.53:
	v_mov_b32_e32 v18, s45
	v_add_co_u32_e32 v19, vcc, s44, v33
	v_addc_co_u32_e32 v20, vcc, 0, v18, vcc
	v_mov_b32_e32 v17, 0
	v_or_b32_e32 v18, s47, v20
	v_cmp_ne_u64_e32 vcc, 0, v[17:18]
                                        ; implicit-def: $vgpr17_vgpr18
	s_and_saveexec_b64 s[22:23], vcc
	s_xor_b64 s[26:27], exec, s[22:23]
	s_cbranch_execz .LBB8_55
; %bb.54:
	v_cvt_f32_u32_e32 v17, s46
	v_cvt_f32_u32_e32 v18, s47
	s_sub_u32 s28, 0, s46
	s_subb_u32 s29, 0, s47
	v_madmk_f32 v17, v18, 0x4f800000, v17
	v_rcp_f32_e32 v17, v17
	v_mul_f32_e32 v17, 0x5f7ffffc, v17
	v_mul_f32_e32 v18, 0x2f800000, v17
	v_trunc_f32_e32 v18, v18
	v_madmk_f32 v17, v18, 0xcf800000, v17
	v_cvt_u32_f32_e32 v18, v18
	v_cvt_u32_f32_e32 v17, v17
	v_readfirstlane_b32 s30, v18
	v_readfirstlane_b32 s22, v17
	s_mul_i32 s23, s28, s30
	s_mul_hi_u32 s36, s28, s22
	s_mul_i32 s31, s29, s22
	s_add_i32 s23, s36, s23
	s_mul_i32 s37, s28, s22
	s_add_i32 s23, s23, s31
	s_mul_i32 s36, s22, s23
	s_mul_hi_u32 s62, s22, s37
	s_mul_hi_u32 s31, s22, s23
	s_add_u32 s36, s62, s36
	s_addc_u32 s31, 0, s31
	s_mul_hi_u32 s63, s30, s37
	s_mul_i32 s37, s30, s37
	s_add_u32 s36, s36, s37
	s_mul_hi_u32 s62, s30, s23
	s_addc_u32 s31, s31, s63
	s_addc_u32 s36, s62, 0
	s_mul_i32 s23, s30, s23
	s_add_u32 s23, s31, s23
	s_addc_u32 s31, 0, s36
	s_add_u32 s36, s22, s23
	s_cselect_b64 s[22:23], -1, 0
	s_cmp_lg_u64 s[22:23], 0
	s_addc_u32 s30, s30, s31
	s_mul_i32 s22, s28, s30
	s_mul_hi_u32 s23, s28, s36
	s_add_i32 s22, s23, s22
	s_mul_i32 s29, s29, s36
	s_add_i32 s22, s22, s29
	s_mul_i32 s28, s28, s36
	s_mul_hi_u32 s29, s30, s28
	s_mul_i32 s31, s30, s28
	s_mul_i32 s62, s36, s22
	s_mul_hi_u32 s28, s36, s28
	s_mul_hi_u32 s37, s36, s22
	s_add_u32 s28, s28, s62
	s_addc_u32 s37, 0, s37
	s_add_u32 s28, s28, s31
	s_mul_hi_u32 s23, s30, s22
	s_addc_u32 s28, s37, s29
	s_addc_u32 s23, s23, 0
	s_mul_i32 s22, s30, s22
	s_add_u32 s22, s28, s22
	s_addc_u32 s28, 0, s23
	s_add_u32 s29, s36, s22
	s_cselect_b64 s[22:23], -1, 0
	s_cmp_lg_u64 s[22:23], 0
	s_addc_u32 s28, s30, s28
	v_mad_u64_u32 v[17:18], s[22:23], v19, s28, 0
	v_mul_hi_u32 v21, v19, s29
	v_add_co_u32_e32 v23, vcc, v21, v17
	v_addc_co_u32_e32 v24, vcc, 0, v18, vcc
	v_mad_u64_u32 v[17:18], s[22:23], v20, s29, 0
	v_mad_u64_u32 v[21:22], s[22:23], v20, s28, 0
	v_add_co_u32_e32 v17, vcc, v23, v17
	v_addc_co_u32_e32 v17, vcc, v24, v18, vcc
	v_addc_co_u32_e32 v18, vcc, 0, v22, vcc
	v_add_co_u32_e32 v21, vcc, v17, v21
	v_addc_co_u32_e32 v22, vcc, 0, v18, vcc
	v_mul_lo_u32 v23, s47, v21
	v_mul_lo_u32 v24, s46, v22
	v_mad_u64_u32 v[17:18], s[22:23], s46, v21, 0
	v_add3_u32 v18, v18, v24, v23
	v_sub_u32_e32 v23, v20, v18
	v_mov_b32_e32 v24, s47
	v_sub_co_u32_e32 v17, vcc, v19, v17
	v_subb_co_u32_e64 v19, s[22:23], v23, v24, vcc
	v_subrev_co_u32_e64 v23, s[22:23], s46, v17
	v_subbrev_co_u32_e64 v19, s[22:23], 0, v19, s[22:23]
	v_cmp_le_u32_e64 s[22:23], s47, v19
	v_cndmask_b32_e64 v24, 0, -1, s[22:23]
	v_cmp_le_u32_e64 s[22:23], s46, v23
	v_cndmask_b32_e64 v23, 0, -1, s[22:23]
	v_cmp_eq_u32_e64 s[22:23], s47, v19
	v_cndmask_b32_e64 v19, v24, v23, s[22:23]
	v_add_co_u32_e64 v23, s[22:23], 2, v21
	v_subb_co_u32_e32 v18, vcc, v20, v18, vcc
	v_addc_co_u32_e64 v24, s[22:23], 0, v22, s[22:23]
	v_cmp_le_u32_e32 vcc, s47, v18
	v_add_co_u32_e64 v25, s[22:23], 1, v21
	v_cndmask_b32_e64 v20, 0, -1, vcc
	v_cmp_le_u32_e32 vcc, s46, v17
	v_addc_co_u32_e64 v26, s[22:23], 0, v22, s[22:23]
	v_cndmask_b32_e64 v17, 0, -1, vcc
	v_cmp_eq_u32_e32 vcc, s47, v18
	v_cmp_ne_u32_e64 s[22:23], 0, v19
	v_cndmask_b32_e32 v17, v20, v17, vcc
	v_cndmask_b32_e64 v19, v26, v24, s[22:23]
	v_cmp_ne_u32_e32 vcc, 0, v17
	v_cndmask_b32_e64 v17, v25, v23, s[22:23]
	v_cndmask_b32_e32 v18, v22, v19, vcc
	v_cndmask_b32_e32 v17, v21, v17, vcc
                                        ; implicit-def: $vgpr19
.LBB8_55:
	s_andn2_saveexec_b64 s[22:23], s[26:27]
	s_cbranch_execz .LBB8_57
; %bb.56:
	v_cvt_f32_u32_e32 v17, s46
	s_sub_i32 s26, 0, s46
	v_rcp_iflag_f32_e32 v17, v17
	v_mul_f32_e32 v17, 0x4f7ffffe, v17
	v_cvt_u32_f32_e32 v17, v17
	v_mul_lo_u32 v18, s26, v17
	v_mul_hi_u32 v18, v17, v18
	v_add_u32_e32 v17, v17, v18
	v_mul_hi_u32 v17, v19, v17
	v_mul_lo_u32 v18, v17, s46
	v_add_u32_e32 v20, 1, v17
	v_sub_u32_e32 v18, v19, v18
	v_subrev_u32_e32 v19, s46, v18
	v_cmp_le_u32_e32 vcc, s46, v18
	v_cndmask_b32_e32 v18, v18, v19, vcc
	v_cndmask_b32_e32 v17, v17, v20, vcc
	v_add_u32_e32 v19, 1, v17
	v_cmp_le_u32_e32 vcc, s46, v18
	v_cndmask_b32_e32 v17, v17, v19, vcc
	v_mov_b32_e32 v18, 0
.LBB8_57:
	s_or_b64 exec, exec, s[22:23]
.LBB8_58:
	s_or_b64 exec, exec, s[24:25]
	v_or_b32_e32 v34, 0x900, v0
	v_mov_b32_e32 v19, s60
	v_cmp_gt_u32_e64 s[22:23], s66, v34
	v_mov_b32_e32 v20, s61
	s_and_saveexec_b64 s[26:27], s[22:23]
	s_cbranch_execz .LBB8_64
; %bb.59:
	v_mov_b32_e32 v20, s45
	v_add_co_u32_e32 v21, vcc, s44, v34
	v_addc_co_u32_e32 v22, vcc, 0, v20, vcc
	v_mov_b32_e32 v19, 0
	v_or_b32_e32 v20, s47, v22
	v_cmp_ne_u64_e32 vcc, 0, v[19:20]
                                        ; implicit-def: $vgpr19_vgpr20
	s_and_saveexec_b64 s[24:25], vcc
	s_xor_b64 s[28:29], exec, s[24:25]
	s_cbranch_execz .LBB8_61
; %bb.60:
	v_cvt_f32_u32_e32 v19, s46
	v_cvt_f32_u32_e32 v20, s47
	s_sub_u32 s30, 0, s46
	s_subb_u32 s31, 0, s47
	v_madmk_f32 v19, v20, 0x4f800000, v19
	v_rcp_f32_e32 v19, v19
	v_mul_f32_e32 v19, 0x5f7ffffc, v19
	v_mul_f32_e32 v20, 0x2f800000, v19
	v_trunc_f32_e32 v20, v20
	v_madmk_f32 v19, v20, 0xcf800000, v19
	v_cvt_u32_f32_e32 v20, v20
	v_cvt_u32_f32_e32 v19, v19
	v_readfirstlane_b32 s36, v20
	v_readfirstlane_b32 s24, v19
	s_mul_i32 s25, s30, s36
	s_mul_hi_u32 s62, s30, s24
	s_mul_i32 s37, s31, s24
	s_add_i32 s25, s62, s25
	s_mul_i32 s63, s30, s24
	s_add_i32 s25, s25, s37
	s_mul_i32 s62, s24, s25
	s_mul_hi_u32 s64, s24, s63
	s_mul_hi_u32 s37, s24, s25
	s_add_u32 s62, s64, s62
	s_addc_u32 s37, 0, s37
	s_mul_hi_u32 s65, s36, s63
	s_mul_i32 s63, s36, s63
	s_add_u32 s62, s62, s63
	s_mul_hi_u32 s64, s36, s25
	s_addc_u32 s37, s37, s65
	s_addc_u32 s62, s64, 0
	s_mul_i32 s25, s36, s25
	s_add_u32 s25, s37, s25
	s_addc_u32 s37, 0, s62
	s_add_u32 s62, s24, s25
	s_cselect_b64 s[24:25], -1, 0
	s_cmp_lg_u64 s[24:25], 0
	s_addc_u32 s36, s36, s37
	s_mul_i32 s24, s30, s36
	s_mul_hi_u32 s25, s30, s62
	s_add_i32 s24, s25, s24
	s_mul_i32 s31, s31, s62
	s_add_i32 s24, s24, s31
	s_mul_i32 s30, s30, s62
	s_mul_hi_u32 s31, s36, s30
	s_mul_i32 s37, s36, s30
	s_mul_i32 s64, s62, s24
	s_mul_hi_u32 s30, s62, s30
	s_mul_hi_u32 s63, s62, s24
	s_add_u32 s30, s30, s64
	s_addc_u32 s63, 0, s63
	s_add_u32 s30, s30, s37
	s_mul_hi_u32 s25, s36, s24
	s_addc_u32 s30, s63, s31
	s_addc_u32 s25, s25, 0
	s_mul_i32 s24, s36, s24
	s_add_u32 s24, s30, s24
	s_addc_u32 s30, 0, s25
	s_add_u32 s31, s62, s24
	s_cselect_b64 s[24:25], -1, 0
	s_cmp_lg_u64 s[24:25], 0
	s_addc_u32 s30, s36, s30
	v_mad_u64_u32 v[19:20], s[24:25], v21, s30, 0
	v_mul_hi_u32 v23, v21, s31
	v_add_co_u32_e32 v25, vcc, v23, v19
	v_addc_co_u32_e32 v26, vcc, 0, v20, vcc
	v_mad_u64_u32 v[19:20], s[24:25], v22, s31, 0
	v_mad_u64_u32 v[23:24], s[24:25], v22, s30, 0
	v_add_co_u32_e32 v19, vcc, v25, v19
	v_addc_co_u32_e32 v19, vcc, v26, v20, vcc
	v_addc_co_u32_e32 v20, vcc, 0, v24, vcc
	v_add_co_u32_e32 v23, vcc, v19, v23
	v_addc_co_u32_e32 v24, vcc, 0, v20, vcc
	v_mul_lo_u32 v25, s47, v23
	v_mul_lo_u32 v26, s46, v24
	v_mad_u64_u32 v[19:20], s[24:25], s46, v23, 0
	v_add3_u32 v20, v20, v26, v25
	v_sub_u32_e32 v25, v22, v20
	v_mov_b32_e32 v26, s47
	v_sub_co_u32_e32 v19, vcc, v21, v19
	v_subb_co_u32_e64 v21, s[24:25], v25, v26, vcc
	v_subrev_co_u32_e64 v25, s[24:25], s46, v19
	v_subbrev_co_u32_e64 v21, s[24:25], 0, v21, s[24:25]
	v_cmp_le_u32_e64 s[24:25], s47, v21
	v_cndmask_b32_e64 v26, 0, -1, s[24:25]
	v_cmp_le_u32_e64 s[24:25], s46, v25
	v_cndmask_b32_e64 v25, 0, -1, s[24:25]
	v_cmp_eq_u32_e64 s[24:25], s47, v21
	v_cndmask_b32_e64 v21, v26, v25, s[24:25]
	v_add_co_u32_e64 v25, s[24:25], 2, v23
	v_subb_co_u32_e32 v20, vcc, v22, v20, vcc
	v_addc_co_u32_e64 v26, s[24:25], 0, v24, s[24:25]
	v_cmp_le_u32_e32 vcc, s47, v20
	v_add_co_u32_e64 v27, s[24:25], 1, v23
	v_cndmask_b32_e64 v22, 0, -1, vcc
	v_cmp_le_u32_e32 vcc, s46, v19
	v_addc_co_u32_e64 v28, s[24:25], 0, v24, s[24:25]
	v_cndmask_b32_e64 v19, 0, -1, vcc
	v_cmp_eq_u32_e32 vcc, s47, v20
	v_cmp_ne_u32_e64 s[24:25], 0, v21
	v_cndmask_b32_e32 v19, v22, v19, vcc
	v_cndmask_b32_e64 v21, v28, v26, s[24:25]
	v_cmp_ne_u32_e32 vcc, 0, v19
	v_cndmask_b32_e64 v19, v27, v25, s[24:25]
	v_cndmask_b32_e32 v20, v24, v21, vcc
	v_cndmask_b32_e32 v19, v23, v19, vcc
                                        ; implicit-def: $vgpr21
.LBB8_61:
	s_andn2_saveexec_b64 s[24:25], s[28:29]
	s_cbranch_execz .LBB8_63
; %bb.62:
	v_cvt_f32_u32_e32 v19, s46
	s_sub_i32 s28, 0, s46
	v_rcp_iflag_f32_e32 v19, v19
	v_mul_f32_e32 v19, 0x4f7ffffe, v19
	v_cvt_u32_f32_e32 v19, v19
	v_mul_lo_u32 v20, s28, v19
	v_mul_hi_u32 v20, v19, v20
	v_add_u32_e32 v19, v19, v20
	v_mul_hi_u32 v19, v21, v19
	v_mul_lo_u32 v20, v19, s46
	v_add_u32_e32 v22, 1, v19
	v_sub_u32_e32 v20, v21, v20
	v_subrev_u32_e32 v21, s46, v20
	v_cmp_le_u32_e32 vcc, s46, v20
	v_cndmask_b32_e32 v20, v20, v21, vcc
	v_cndmask_b32_e32 v19, v19, v22, vcc
	v_add_u32_e32 v21, 1, v19
	v_cmp_le_u32_e32 vcc, s46, v20
	v_cndmask_b32_e32 v19, v19, v21, vcc
	v_mov_b32_e32 v20, 0
.LBB8_63:
	s_or_b64 exec, exec, s[24:25]
.LBB8_64:
	s_or_b64 exec, exec, s[26:27]
	v_or_b32_e32 v35, 0xa00, v0
	v_mov_b32_e32 v21, s60
	v_cmp_gt_u32_e64 s[24:25], s66, v35
	v_mov_b32_e32 v22, s61
	s_and_saveexec_b64 s[28:29], s[24:25]
	s_cbranch_execz .LBB8_70
; %bb.65:
	v_mov_b32_e32 v22, s45
	v_add_co_u32_e32 v23, vcc, s44, v35
	v_addc_co_u32_e32 v24, vcc, 0, v22, vcc
	v_mov_b32_e32 v21, 0
	v_or_b32_e32 v22, s47, v24
	v_cmp_ne_u64_e32 vcc, 0, v[21:22]
                                        ; implicit-def: $vgpr21_vgpr22
	s_and_saveexec_b64 s[26:27], vcc
	s_xor_b64 s[30:31], exec, s[26:27]
	s_cbranch_execz .LBB8_67
; %bb.66:
	v_cvt_f32_u32_e32 v21, s46
	v_cvt_f32_u32_e32 v22, s47
	s_sub_u32 s36, 0, s46
	s_subb_u32 s37, 0, s47
	v_madmk_f32 v21, v22, 0x4f800000, v21
	v_rcp_f32_e32 v21, v21
	v_mul_f32_e32 v21, 0x5f7ffffc, v21
	v_mul_f32_e32 v22, 0x2f800000, v21
	v_trunc_f32_e32 v22, v22
	v_madmk_f32 v21, v22, 0xcf800000, v21
	v_cvt_u32_f32_e32 v22, v22
	v_cvt_u32_f32_e32 v21, v21
	v_readfirstlane_b32 s62, v22
	v_readfirstlane_b32 s26, v21
	s_mul_i32 s27, s36, s62
	s_mul_hi_u32 s64, s36, s26
	s_mul_i32 s63, s37, s26
	s_add_i32 s27, s64, s27
	s_mul_i32 s65, s36, s26
	s_add_i32 s27, s27, s63
	s_mul_i32 s64, s26, s27
	s_mul_hi_u32 s67, s26, s65
	s_mul_hi_u32 s63, s26, s27
	s_add_u32 s64, s67, s64
	s_addc_u32 s63, 0, s63
	s_mul_hi_u32 s68, s62, s65
	s_mul_i32 s65, s62, s65
	s_add_u32 s64, s64, s65
	s_mul_hi_u32 s67, s62, s27
	s_addc_u32 s63, s63, s68
	s_addc_u32 s64, s67, 0
	s_mul_i32 s27, s62, s27
	s_add_u32 s27, s63, s27
	s_addc_u32 s63, 0, s64
	s_add_u32 s64, s26, s27
	s_cselect_b64 s[26:27], -1, 0
	s_cmp_lg_u64 s[26:27], 0
	s_addc_u32 s62, s62, s63
	s_mul_i32 s26, s36, s62
	s_mul_hi_u32 s27, s36, s64
	s_add_i32 s26, s27, s26
	s_mul_i32 s37, s37, s64
	s_add_i32 s26, s26, s37
	s_mul_i32 s36, s36, s64
	s_mul_hi_u32 s37, s62, s36
	s_mul_i32 s63, s62, s36
	s_mul_i32 s67, s64, s26
	s_mul_hi_u32 s36, s64, s36
	s_mul_hi_u32 s65, s64, s26
	s_add_u32 s36, s36, s67
	s_addc_u32 s65, 0, s65
	s_add_u32 s36, s36, s63
	s_mul_hi_u32 s27, s62, s26
	s_addc_u32 s36, s65, s37
	s_addc_u32 s27, s27, 0
	s_mul_i32 s26, s62, s26
	s_add_u32 s26, s36, s26
	s_addc_u32 s36, 0, s27
	s_add_u32 s37, s64, s26
	s_cselect_b64 s[26:27], -1, 0
	s_cmp_lg_u64 s[26:27], 0
	s_addc_u32 s36, s62, s36
	v_mad_u64_u32 v[21:22], s[26:27], v23, s36, 0
	v_mul_hi_u32 v25, v23, s37
	v_add_co_u32_e32 v27, vcc, v25, v21
	v_addc_co_u32_e32 v28, vcc, 0, v22, vcc
	v_mad_u64_u32 v[21:22], s[26:27], v24, s37, 0
	v_mad_u64_u32 v[25:26], s[26:27], v24, s36, 0
	v_add_co_u32_e32 v21, vcc, v27, v21
	v_addc_co_u32_e32 v21, vcc, v28, v22, vcc
	v_addc_co_u32_e32 v22, vcc, 0, v26, vcc
	v_add_co_u32_e32 v25, vcc, v21, v25
	v_addc_co_u32_e32 v26, vcc, 0, v22, vcc
	v_mul_lo_u32 v27, s47, v25
	v_mul_lo_u32 v28, s46, v26
	v_mad_u64_u32 v[21:22], s[26:27], s46, v25, 0
	v_add3_u32 v22, v22, v28, v27
	v_sub_u32_e32 v27, v24, v22
	v_mov_b32_e32 v28, s47
	v_sub_co_u32_e32 v21, vcc, v23, v21
	v_subb_co_u32_e64 v23, s[26:27], v27, v28, vcc
	v_subrev_co_u32_e64 v27, s[26:27], s46, v21
	v_subbrev_co_u32_e64 v23, s[26:27], 0, v23, s[26:27]
	v_cmp_le_u32_e64 s[26:27], s47, v23
	v_cndmask_b32_e64 v28, 0, -1, s[26:27]
	v_cmp_le_u32_e64 s[26:27], s46, v27
	v_cndmask_b32_e64 v27, 0, -1, s[26:27]
	v_cmp_eq_u32_e64 s[26:27], s47, v23
	v_cndmask_b32_e64 v23, v28, v27, s[26:27]
	v_add_co_u32_e64 v27, s[26:27], 2, v25
	v_subb_co_u32_e32 v22, vcc, v24, v22, vcc
	v_addc_co_u32_e64 v28, s[26:27], 0, v26, s[26:27]
	v_cmp_le_u32_e32 vcc, s47, v22
	v_add_co_u32_e64 v36, s[26:27], 1, v25
	v_cndmask_b32_e64 v24, 0, -1, vcc
	v_cmp_le_u32_e32 vcc, s46, v21
	v_addc_co_u32_e64 v37, s[26:27], 0, v26, s[26:27]
	v_cndmask_b32_e64 v21, 0, -1, vcc
	v_cmp_eq_u32_e32 vcc, s47, v22
	v_cmp_ne_u32_e64 s[26:27], 0, v23
	v_cndmask_b32_e32 v21, v24, v21, vcc
	v_cndmask_b32_e64 v23, v37, v28, s[26:27]
	v_cmp_ne_u32_e32 vcc, 0, v21
	v_cndmask_b32_e64 v21, v36, v27, s[26:27]
	v_cndmask_b32_e32 v22, v26, v23, vcc
	v_cndmask_b32_e32 v21, v25, v21, vcc
                                        ; implicit-def: $vgpr23
.LBB8_67:
	s_andn2_saveexec_b64 s[26:27], s[30:31]
	s_cbranch_execz .LBB8_69
; %bb.68:
	v_cvt_f32_u32_e32 v21, s46
	s_sub_i32 s30, 0, s46
	v_rcp_iflag_f32_e32 v21, v21
	v_mul_f32_e32 v21, 0x4f7ffffe, v21
	v_cvt_u32_f32_e32 v21, v21
	v_mul_lo_u32 v22, s30, v21
	v_mul_hi_u32 v22, v21, v22
	v_add_u32_e32 v21, v21, v22
	v_mul_hi_u32 v21, v23, v21
	v_mul_lo_u32 v22, v21, s46
	v_add_u32_e32 v24, 1, v21
	v_sub_u32_e32 v22, v23, v22
	v_subrev_u32_e32 v23, s46, v22
	v_cmp_le_u32_e32 vcc, s46, v22
	v_cndmask_b32_e32 v22, v22, v23, vcc
	v_cndmask_b32_e32 v21, v21, v24, vcc
	v_add_u32_e32 v23, 1, v21
	v_cmp_le_u32_e32 vcc, s46, v22
	v_cndmask_b32_e32 v21, v21, v23, vcc
	v_mov_b32_e32 v22, 0
.LBB8_69:
	s_or_b64 exec, exec, s[26:27]
.LBB8_70:
	s_or_b64 exec, exec, s[28:29]
	v_or_b32_e32 v36, 0xb00, v0
	v_mov_b32_e32 v23, s60
	v_cmp_gt_u32_e64 s[26:27], s66, v36
	v_mov_b32_e32 v24, s61
	s_and_saveexec_b64 s[30:31], s[26:27]
	s_cbranch_execz .LBB8_76
; %bb.71:
	v_mov_b32_e32 v24, s45
	v_add_co_u32_e32 v25, vcc, s44, v36
	v_addc_co_u32_e32 v26, vcc, 0, v24, vcc
	v_mov_b32_e32 v23, 0
	v_or_b32_e32 v24, s47, v26
	v_cmp_ne_u64_e32 vcc, 0, v[23:24]
                                        ; implicit-def: $vgpr23_vgpr24
	s_and_saveexec_b64 s[28:29], vcc
	s_xor_b64 s[36:37], exec, s[28:29]
	s_cbranch_execz .LBB8_73
; %bb.72:
	v_cvt_f32_u32_e32 v23, s46
	v_cvt_f32_u32_e32 v24, s47
	s_sub_u32 s62, 0, s46
	s_subb_u32 s63, 0, s47
	v_madmk_f32 v23, v24, 0x4f800000, v23
	v_rcp_f32_e32 v23, v23
	v_mul_f32_e32 v23, 0x5f7ffffc, v23
	v_mul_f32_e32 v24, 0x2f800000, v23
	v_trunc_f32_e32 v24, v24
	v_madmk_f32 v23, v24, 0xcf800000, v23
	v_cvt_u32_f32_e32 v24, v24
	v_cvt_u32_f32_e32 v23, v23
	v_readfirstlane_b32 s64, v24
	v_readfirstlane_b32 s28, v23
	s_mul_i32 s29, s62, s64
	s_mul_hi_u32 s67, s62, s28
	s_mul_i32 s65, s63, s28
	s_add_i32 s29, s67, s29
	s_mul_i32 s68, s62, s28
	s_add_i32 s29, s29, s65
	s_mul_i32 s67, s28, s29
	s_mul_hi_u32 s69, s28, s68
	s_mul_hi_u32 s65, s28, s29
	s_add_u32 s67, s69, s67
	s_addc_u32 s65, 0, s65
	s_mul_hi_u32 s70, s64, s68
	s_mul_i32 s68, s64, s68
	s_add_u32 s67, s67, s68
	s_mul_hi_u32 s69, s64, s29
	s_addc_u32 s65, s65, s70
	s_addc_u32 s67, s69, 0
	s_mul_i32 s29, s64, s29
	s_add_u32 s29, s65, s29
	s_addc_u32 s65, 0, s67
	s_add_u32 s67, s28, s29
	s_cselect_b64 s[28:29], -1, 0
	s_cmp_lg_u64 s[28:29], 0
	s_addc_u32 s64, s64, s65
	s_mul_i32 s28, s62, s64
	s_mul_hi_u32 s29, s62, s67
	s_add_i32 s28, s29, s28
	s_mul_i32 s63, s63, s67
	s_add_i32 s28, s28, s63
	s_mul_i32 s62, s62, s67
	s_mul_hi_u32 s63, s64, s62
	s_mul_i32 s65, s64, s62
	s_mul_i32 s69, s67, s28
	s_mul_hi_u32 s62, s67, s62
	s_mul_hi_u32 s68, s67, s28
	s_add_u32 s62, s62, s69
	s_addc_u32 s68, 0, s68
	s_add_u32 s62, s62, s65
	s_mul_hi_u32 s29, s64, s28
	s_addc_u32 s62, s68, s63
	s_addc_u32 s29, s29, 0
	s_mul_i32 s28, s64, s28
	s_add_u32 s28, s62, s28
	s_addc_u32 s62, 0, s29
	s_add_u32 s63, s67, s28
	s_cselect_b64 s[28:29], -1, 0
	s_cmp_lg_u64 s[28:29], 0
	s_addc_u32 s62, s64, s62
	v_mad_u64_u32 v[23:24], s[28:29], v25, s62, 0
	v_mul_hi_u32 v27, v25, s63
	v_add_co_u32_e32 v37, vcc, v27, v23
	v_addc_co_u32_e32 v38, vcc, 0, v24, vcc
	v_mad_u64_u32 v[23:24], s[28:29], v26, s63, 0
	v_mad_u64_u32 v[27:28], s[28:29], v26, s62, 0
	v_add_co_u32_e32 v23, vcc, v37, v23
	v_addc_co_u32_e32 v23, vcc, v38, v24, vcc
	v_addc_co_u32_e32 v24, vcc, 0, v28, vcc
	v_add_co_u32_e32 v27, vcc, v23, v27
	v_addc_co_u32_e32 v28, vcc, 0, v24, vcc
	v_mul_lo_u32 v37, s47, v27
	v_mul_lo_u32 v38, s46, v28
	v_mad_u64_u32 v[23:24], s[28:29], s46, v27, 0
	v_add3_u32 v24, v24, v38, v37
	v_sub_u32_e32 v37, v26, v24
	v_mov_b32_e32 v38, s47
	v_sub_co_u32_e32 v23, vcc, v25, v23
	v_subb_co_u32_e64 v25, s[28:29], v37, v38, vcc
	v_subrev_co_u32_e64 v37, s[28:29], s46, v23
	v_subbrev_co_u32_e64 v25, s[28:29], 0, v25, s[28:29]
	v_cmp_le_u32_e64 s[28:29], s47, v25
	v_cndmask_b32_e64 v38, 0, -1, s[28:29]
	v_cmp_le_u32_e64 s[28:29], s46, v37
	v_cndmask_b32_e64 v37, 0, -1, s[28:29]
	v_cmp_eq_u32_e64 s[28:29], s47, v25
	v_cndmask_b32_e64 v25, v38, v37, s[28:29]
	v_add_co_u32_e64 v37, s[28:29], 2, v27
	v_subb_co_u32_e32 v24, vcc, v26, v24, vcc
	v_addc_co_u32_e64 v38, s[28:29], 0, v28, s[28:29]
	v_cmp_le_u32_e32 vcc, s47, v24
	v_add_co_u32_e64 v39, s[28:29], 1, v27
	v_cndmask_b32_e64 v26, 0, -1, vcc
	v_cmp_le_u32_e32 vcc, s46, v23
	v_addc_co_u32_e64 v40, s[28:29], 0, v28, s[28:29]
	v_cndmask_b32_e64 v23, 0, -1, vcc
	v_cmp_eq_u32_e32 vcc, s47, v24
	v_cmp_ne_u32_e64 s[28:29], 0, v25
	v_cndmask_b32_e32 v23, v26, v23, vcc
	v_cndmask_b32_e64 v25, v40, v38, s[28:29]
	v_cmp_ne_u32_e32 vcc, 0, v23
	v_cndmask_b32_e64 v23, v39, v37, s[28:29]
	v_cndmask_b32_e32 v24, v28, v25, vcc
	v_cndmask_b32_e32 v23, v27, v23, vcc
                                        ; implicit-def: $vgpr25
.LBB8_73:
	s_andn2_saveexec_b64 s[28:29], s[36:37]
	s_cbranch_execz .LBB8_75
; %bb.74:
	v_cvt_f32_u32_e32 v23, s46
	s_sub_i32 s36, 0, s46
	v_rcp_iflag_f32_e32 v23, v23
	v_mul_f32_e32 v23, 0x4f7ffffe, v23
	v_cvt_u32_f32_e32 v23, v23
	v_mul_lo_u32 v24, s36, v23
	v_mul_hi_u32 v24, v23, v24
	v_add_u32_e32 v23, v23, v24
	v_mul_hi_u32 v23, v25, v23
	v_mul_lo_u32 v24, v23, s46
	v_add_u32_e32 v26, 1, v23
	v_sub_u32_e32 v24, v25, v24
	v_subrev_u32_e32 v25, s46, v24
	v_cmp_le_u32_e32 vcc, s46, v24
	v_cndmask_b32_e32 v24, v24, v25, vcc
	v_cndmask_b32_e32 v23, v23, v26, vcc
	v_add_u32_e32 v25, 1, v23
	v_cmp_le_u32_e32 vcc, s46, v24
	v_cndmask_b32_e32 v23, v23, v25, vcc
	v_mov_b32_e32 v24, 0
.LBB8_75:
	s_or_b64 exec, exec, s[28:29]
.LBB8_76:
	s_or_b64 exec, exec, s[30:31]
	v_or_b32_e32 v37, 0xc00, v0
	v_mov_b32_e32 v25, s60
	v_cmp_gt_u32_e64 s[28:29], s66, v37
	v_mov_b32_e32 v26, s61
	s_and_saveexec_b64 s[36:37], s[28:29]
	s_cbranch_execz .LBB8_82
; %bb.77:
	v_mov_b32_e32 v26, s45
	v_add_co_u32_e32 v27, vcc, s44, v37
	v_addc_co_u32_e32 v28, vcc, 0, v26, vcc
	v_mov_b32_e32 v25, 0
	v_or_b32_e32 v26, s47, v28
	v_cmp_ne_u64_e32 vcc, 0, v[25:26]
                                        ; implicit-def: $vgpr25_vgpr26
	s_and_saveexec_b64 s[30:31], vcc
	s_xor_b64 s[62:63], exec, s[30:31]
	s_cbranch_execz .LBB8_79
; %bb.78:
	v_cvt_f32_u32_e32 v25, s46
	v_cvt_f32_u32_e32 v26, s47
	s_sub_u32 s64, 0, s46
	s_subb_u32 s65, 0, s47
	v_madmk_f32 v25, v26, 0x4f800000, v25
	v_rcp_f32_e32 v25, v25
	v_mul_f32_e32 v25, 0x5f7ffffc, v25
	v_mul_f32_e32 v26, 0x2f800000, v25
	v_trunc_f32_e32 v26, v26
	v_madmk_f32 v25, v26, 0xcf800000, v25
	v_cvt_u32_f32_e32 v26, v26
	v_cvt_u32_f32_e32 v25, v25
	v_readfirstlane_b32 s67, v26
	v_readfirstlane_b32 s30, v25
	s_mul_i32 s31, s64, s67
	s_mul_hi_u32 s69, s64, s30
	s_mul_i32 s68, s65, s30
	s_add_i32 s31, s69, s31
	s_mul_i32 s70, s64, s30
	s_add_i32 s31, s31, s68
	s_mul_i32 s69, s30, s31
	s_mul_hi_u32 s71, s30, s70
	s_mul_hi_u32 s68, s30, s31
	s_add_u32 s69, s71, s69
	s_addc_u32 s68, 0, s68
	s_mul_hi_u32 s72, s67, s70
	s_mul_i32 s70, s67, s70
	s_add_u32 s69, s69, s70
	s_mul_hi_u32 s71, s67, s31
	s_addc_u32 s68, s68, s72
	s_addc_u32 s69, s71, 0
	s_mul_i32 s31, s67, s31
	s_add_u32 s31, s68, s31
	s_addc_u32 s68, 0, s69
	s_add_u32 s69, s30, s31
	s_cselect_b64 s[30:31], -1, 0
	s_cmp_lg_u64 s[30:31], 0
	s_addc_u32 s67, s67, s68
	s_mul_i32 s30, s64, s67
	s_mul_hi_u32 s31, s64, s69
	s_add_i32 s30, s31, s30
	s_mul_i32 s65, s65, s69
	s_add_i32 s30, s30, s65
	s_mul_i32 s64, s64, s69
	s_mul_hi_u32 s65, s67, s64
	s_mul_i32 s68, s67, s64
	s_mul_i32 s71, s69, s30
	s_mul_hi_u32 s64, s69, s64
	s_mul_hi_u32 s70, s69, s30
	s_add_u32 s64, s64, s71
	s_addc_u32 s70, 0, s70
	s_add_u32 s64, s64, s68
	s_mul_hi_u32 s31, s67, s30
	s_addc_u32 s64, s70, s65
	s_addc_u32 s31, s31, 0
	s_mul_i32 s30, s67, s30
	s_add_u32 s30, s64, s30
	s_addc_u32 s64, 0, s31
	s_add_u32 s65, s69, s30
	s_cselect_b64 s[30:31], -1, 0
	s_cmp_lg_u64 s[30:31], 0
	s_addc_u32 s64, s67, s64
	v_mad_u64_u32 v[25:26], s[30:31], v27, s64, 0
	v_mul_hi_u32 v38, v27, s65
	v_add_co_u32_e32 v40, vcc, v38, v25
	v_addc_co_u32_e32 v41, vcc, 0, v26, vcc
	v_mad_u64_u32 v[25:26], s[30:31], v28, s65, 0
	v_mad_u64_u32 v[38:39], s[30:31], v28, s64, 0
	v_add_co_u32_e32 v25, vcc, v40, v25
	v_addc_co_u32_e32 v25, vcc, v41, v26, vcc
	v_addc_co_u32_e32 v26, vcc, 0, v39, vcc
	v_add_co_u32_e32 v38, vcc, v25, v38
	v_addc_co_u32_e32 v39, vcc, 0, v26, vcc
	v_mul_lo_u32 v40, s47, v38
	v_mul_lo_u32 v41, s46, v39
	v_mad_u64_u32 v[25:26], s[30:31], s46, v38, 0
	v_add3_u32 v26, v26, v41, v40
	v_sub_u32_e32 v40, v28, v26
	v_mov_b32_e32 v41, s47
	v_sub_co_u32_e32 v25, vcc, v27, v25
	v_subb_co_u32_e64 v27, s[30:31], v40, v41, vcc
	v_subrev_co_u32_e64 v40, s[30:31], s46, v25
	v_subbrev_co_u32_e64 v27, s[30:31], 0, v27, s[30:31]
	v_cmp_le_u32_e64 s[30:31], s47, v27
	v_cndmask_b32_e64 v41, 0, -1, s[30:31]
	v_cmp_le_u32_e64 s[30:31], s46, v40
	v_cndmask_b32_e64 v40, 0, -1, s[30:31]
	v_cmp_eq_u32_e64 s[30:31], s47, v27
	v_cndmask_b32_e64 v27, v41, v40, s[30:31]
	v_add_co_u32_e64 v40, s[30:31], 2, v38
	v_subb_co_u32_e32 v26, vcc, v28, v26, vcc
	v_addc_co_u32_e64 v41, s[30:31], 0, v39, s[30:31]
	v_cmp_le_u32_e32 vcc, s47, v26
	v_add_co_u32_e64 v42, s[30:31], 1, v38
	v_cndmask_b32_e64 v28, 0, -1, vcc
	v_cmp_le_u32_e32 vcc, s46, v25
	v_addc_co_u32_e64 v43, s[30:31], 0, v39, s[30:31]
	v_cndmask_b32_e64 v25, 0, -1, vcc
	v_cmp_eq_u32_e32 vcc, s47, v26
	v_cmp_ne_u32_e64 s[30:31], 0, v27
	v_cndmask_b32_e32 v25, v28, v25, vcc
	v_cndmask_b32_e64 v27, v43, v41, s[30:31]
	v_cmp_ne_u32_e32 vcc, 0, v25
	v_cndmask_b32_e64 v25, v42, v40, s[30:31]
	v_cndmask_b32_e32 v26, v39, v27, vcc
	v_cndmask_b32_e32 v25, v38, v25, vcc
                                        ; implicit-def: $vgpr27
.LBB8_79:
	s_andn2_saveexec_b64 s[30:31], s[62:63]
	s_cbranch_execz .LBB8_81
; %bb.80:
	v_cvt_f32_u32_e32 v25, s46
	s_sub_i32 s62, 0, s46
	v_rcp_iflag_f32_e32 v25, v25
	v_mul_f32_e32 v25, 0x4f7ffffe, v25
	v_cvt_u32_f32_e32 v25, v25
	v_mul_lo_u32 v26, s62, v25
	v_mul_hi_u32 v26, v25, v26
	v_add_u32_e32 v25, v25, v26
	v_mul_hi_u32 v25, v27, v25
	v_mul_lo_u32 v26, v25, s46
	v_add_u32_e32 v28, 1, v25
	v_sub_u32_e32 v26, v27, v26
	v_subrev_u32_e32 v27, s46, v26
	v_cmp_le_u32_e32 vcc, s46, v26
	v_cndmask_b32_e32 v26, v26, v27, vcc
	v_cndmask_b32_e32 v25, v25, v28, vcc
	v_add_u32_e32 v27, 1, v25
	v_cmp_le_u32_e32 vcc, s46, v26
	v_cndmask_b32_e32 v25, v25, v27, vcc
	v_mov_b32_e32 v26, 0
.LBB8_81:
	s_or_b64 exec, exec, s[30:31]
.LBB8_82:
	s_or_b64 exec, exec, s[36:37]
	v_or_b32_e32 v38, 0xd00, v0
	v_mov_b32_e32 v27, s60
	v_cmp_gt_u32_e64 s[30:31], s66, v38
	v_mov_b32_e32 v28, s61
	s_and_saveexec_b64 s[62:63], s[30:31]
	s_cbranch_execz .LBB8_88
; %bb.83:
	v_mov_b32_e32 v28, s45
	v_add_co_u32_e32 v39, vcc, s44, v38
	v_addc_co_u32_e32 v40, vcc, 0, v28, vcc
	v_mov_b32_e32 v27, 0
	v_or_b32_e32 v28, s47, v40
	v_cmp_ne_u64_e32 vcc, 0, v[27:28]
                                        ; implicit-def: $vgpr27_vgpr28
	s_and_saveexec_b64 s[36:37], vcc
	s_xor_b64 s[64:65], exec, s[36:37]
	s_cbranch_execz .LBB8_85
; %bb.84:
	v_cvt_f32_u32_e32 v27, s46
	v_cvt_f32_u32_e32 v28, s47
	s_sub_u32 s67, 0, s46
	s_subb_u32 s68, 0, s47
	v_madmk_f32 v27, v28, 0x4f800000, v27
	v_rcp_f32_e32 v27, v27
	v_mul_f32_e32 v27, 0x5f7ffffc, v27
	v_mul_f32_e32 v28, 0x2f800000, v27
	v_trunc_f32_e32 v28, v28
	v_madmk_f32 v27, v28, 0xcf800000, v27
	v_cvt_u32_f32_e32 v28, v28
	v_cvt_u32_f32_e32 v27, v27
	v_readfirstlane_b32 s69, v28
	v_readfirstlane_b32 s36, v27
	s_mul_i32 s37, s67, s69
	s_mul_hi_u32 s71, s67, s36
	s_mul_i32 s70, s68, s36
	s_add_i32 s37, s71, s37
	s_mul_i32 s72, s67, s36
	s_add_i32 s37, s37, s70
	s_mul_i32 s71, s36, s37
	s_mul_hi_u32 s73, s36, s72
	s_mul_hi_u32 s70, s36, s37
	s_add_u32 s71, s73, s71
	s_addc_u32 s70, 0, s70
	s_mul_hi_u32 s74, s69, s72
	s_mul_i32 s72, s69, s72
	s_add_u32 s71, s71, s72
	s_mul_hi_u32 s73, s69, s37
	s_addc_u32 s70, s70, s74
	s_addc_u32 s71, s73, 0
	s_mul_i32 s37, s69, s37
	s_add_u32 s37, s70, s37
	s_addc_u32 s70, 0, s71
	s_add_u32 s71, s36, s37
	s_cselect_b64 s[36:37], -1, 0
	s_cmp_lg_u64 s[36:37], 0
	s_addc_u32 s69, s69, s70
	s_mul_i32 s36, s67, s69
	s_mul_hi_u32 s37, s67, s71
	s_add_i32 s36, s37, s36
	s_mul_i32 s68, s68, s71
	s_add_i32 s36, s36, s68
	s_mul_i32 s67, s67, s71
	s_mul_hi_u32 s68, s69, s67
	s_mul_i32 s70, s69, s67
	s_mul_i32 s73, s71, s36
	s_mul_hi_u32 s67, s71, s67
	s_mul_hi_u32 s72, s71, s36
	s_add_u32 s67, s67, s73
	s_addc_u32 s72, 0, s72
	s_add_u32 s67, s67, s70
	s_mul_hi_u32 s37, s69, s36
	s_addc_u32 s67, s72, s68
	s_addc_u32 s37, s37, 0
	s_mul_i32 s36, s69, s36
	s_add_u32 s36, s67, s36
	s_addc_u32 s67, 0, s37
	s_add_u32 s68, s71, s36
	s_cselect_b64 s[36:37], -1, 0
	s_cmp_lg_u64 s[36:37], 0
	s_addc_u32 s67, s69, s67
	v_mad_u64_u32 v[27:28], s[36:37], v39, s67, 0
	v_mul_hi_u32 v41, v39, s68
	v_add_co_u32_e32 v43, vcc, v41, v27
	v_addc_co_u32_e32 v44, vcc, 0, v28, vcc
	v_mad_u64_u32 v[27:28], s[36:37], v40, s68, 0
	v_mad_u64_u32 v[41:42], s[36:37], v40, s67, 0
	v_add_co_u32_e32 v27, vcc, v43, v27
	v_addc_co_u32_e32 v27, vcc, v44, v28, vcc
	v_addc_co_u32_e32 v28, vcc, 0, v42, vcc
	v_add_co_u32_e32 v41, vcc, v27, v41
	v_addc_co_u32_e32 v42, vcc, 0, v28, vcc
	v_mul_lo_u32 v43, s47, v41
	v_mul_lo_u32 v44, s46, v42
	v_mad_u64_u32 v[27:28], s[36:37], s46, v41, 0
	v_add3_u32 v28, v28, v44, v43
	v_sub_u32_e32 v43, v40, v28
	v_mov_b32_e32 v44, s47
	v_sub_co_u32_e32 v27, vcc, v39, v27
	v_subb_co_u32_e64 v39, s[36:37], v43, v44, vcc
	v_subrev_co_u32_e64 v43, s[36:37], s46, v27
	v_subbrev_co_u32_e64 v39, s[36:37], 0, v39, s[36:37]
	v_cmp_le_u32_e64 s[36:37], s47, v39
	v_cndmask_b32_e64 v44, 0, -1, s[36:37]
	v_cmp_le_u32_e64 s[36:37], s46, v43
	v_cndmask_b32_e64 v43, 0, -1, s[36:37]
	v_cmp_eq_u32_e64 s[36:37], s47, v39
	v_cndmask_b32_e64 v39, v44, v43, s[36:37]
	v_add_co_u32_e64 v43, s[36:37], 2, v41
	v_subb_co_u32_e32 v28, vcc, v40, v28, vcc
	v_addc_co_u32_e64 v44, s[36:37], 0, v42, s[36:37]
	v_cmp_le_u32_e32 vcc, s47, v28
	v_add_co_u32_e64 v45, s[36:37], 1, v41
	v_cndmask_b32_e64 v40, 0, -1, vcc
	v_cmp_le_u32_e32 vcc, s46, v27
	v_addc_co_u32_e64 v46, s[36:37], 0, v42, s[36:37]
	v_cndmask_b32_e64 v27, 0, -1, vcc
	v_cmp_eq_u32_e32 vcc, s47, v28
	v_cmp_ne_u32_e64 s[36:37], 0, v39
	v_cndmask_b32_e32 v27, v40, v27, vcc
	v_cndmask_b32_e64 v39, v46, v44, s[36:37]
	v_cmp_ne_u32_e32 vcc, 0, v27
	v_cndmask_b32_e64 v27, v45, v43, s[36:37]
	v_cndmask_b32_e32 v28, v42, v39, vcc
	v_cndmask_b32_e32 v27, v41, v27, vcc
                                        ; implicit-def: $vgpr39
.LBB8_85:
	s_andn2_saveexec_b64 s[36:37], s[64:65]
	s_cbranch_execz .LBB8_87
; %bb.86:
	v_cvt_f32_u32_e32 v27, s46
	s_sub_i32 s64, 0, s46
	v_rcp_iflag_f32_e32 v27, v27
	v_mul_f32_e32 v27, 0x4f7ffffe, v27
	v_cvt_u32_f32_e32 v27, v27
	v_mul_lo_u32 v28, s64, v27
	v_mul_hi_u32 v28, v27, v28
	v_add_u32_e32 v27, v27, v28
	v_mul_hi_u32 v27, v39, v27
	v_mul_lo_u32 v28, v27, s46
	v_add_u32_e32 v40, 1, v27
	v_sub_u32_e32 v28, v39, v28
	v_subrev_u32_e32 v39, s46, v28
	v_cmp_le_u32_e32 vcc, s46, v28
	v_cndmask_b32_e32 v28, v28, v39, vcc
	v_cndmask_b32_e32 v27, v27, v40, vcc
	v_add_u32_e32 v39, 1, v27
	v_cmp_le_u32_e32 vcc, s46, v28
	v_cndmask_b32_e32 v27, v27, v39, vcc
	v_mov_b32_e32 v28, 0
.LBB8_87:
	s_or_b64 exec, exec, s[36:37]
.LBB8_88:
	s_or_b64 exec, exec, s[62:63]
	v_lshlrev_b32_e32 v39, 3, v0
	s_movk_i32 s36, 0x68
	ds_write2st64_b64 v39, v[1:2], v[3:4] offset1:4
	ds_write2st64_b64 v39, v[5:6], v[7:8] offset0:8 offset1:12
	ds_write2st64_b64 v39, v[9:10], v[11:12] offset0:16 offset1:20
	;; [unrolled: 1-line block ×6, first 2 shown]
	v_mad_u32_u24 v39, v0, s36, v39
	s_waitcnt lgkmcnt(0)
	s_barrier
	ds_read_b128 v[25:28], v39
	ds_read_b128 v[21:24], v39 offset:16
	ds_read_b128 v[17:20], v39 offset:32
	;; [unrolled: 1-line block ×6, first 2 shown]
	s_cmp_eq_u64 s[48:49], 0
	s_cbranch_scc1 .LBB8_97
; %bb.89:
	s_andn2_b64 vcc, exec, s[50:51]
	s_cbranch_vccnz .LBB8_93
; %bb.90:
	s_lshl_b64 s[36:37], s[48:49], 3
	s_add_u32 s36, s42, s36
	s_addc_u32 s37, s43, s37
	s_add_u32 s36, s36, -8
	s_addc_u32 s37, s37, -1
	s_load_dwordx2 s[60:61], s[36:37], 0x0
	s_cbranch_execz .LBB8_94
	s_branch .LBB8_97
.LBB8_91:
                                        ; implicit-def: $sgpr8_sgpr9
                                        ; implicit-def: $vgpr78
                                        ; implicit-def: $vgpr29_vgpr30
                                        ; implicit-def: $vgpr55_vgpr56
                                        ; implicit-def: $vgpr57_vgpr58
                                        ; implicit-def: $vgpr59_vgpr60
                                        ; implicit-def: $vgpr61_vgpr62
                                        ; implicit-def: $vgpr63_vgpr64
                                        ; implicit-def: $vgpr65_vgpr66
                                        ; implicit-def: $vgpr67_vgpr68
                                        ; implicit-def: $vgpr69_vgpr70
                                        ; implicit-def: $vgpr71_vgpr72
                                        ; implicit-def: $vgpr73_vgpr74
                                        ; implicit-def: $vgpr75_vgpr76
                                        ; implicit-def: $vgpr53_vgpr54
                                        ; implicit-def: $vgpr51_vgpr52
                                        ; implicit-def: $vgpr49_vgpr50
                                        ; implicit-def: $vgpr47_vgpr48
                                        ; implicit-def: $vgpr45_vgpr46
                                        ; implicit-def: $vgpr43_vgpr44
                                        ; implicit-def: $vgpr41_vgpr42
                                        ; implicit-def: $vgpr39_vgpr40
                                        ; implicit-def: $vgpr37_vgpr38
                                        ; implicit-def: $vgpr35_vgpr36
                                        ; implicit-def: $vgpr33_vgpr34
                                        ; implicit-def: $vgpr31_vgpr32
	s_and_b64 vcc, exec, s[2:3]
	s_cbranch_vccnz .LBB8_141
	s_branch .LBB8_225
.LBB8_92:
                                        ; implicit-def: $sgpr60_sgpr61
	s_branch .LBB8_3
.LBB8_93:
                                        ; implicit-def: $sgpr60_sgpr61
.LBB8_94:
	s_add_u32 s36, s44, -1
	s_addc_u32 s37, s45, -1
	s_waitcnt lgkmcnt(0)
	s_or_b64 s[60:61], s[36:37], s[46:47]
	s_mov_b32 s60, 0
	s_cmp_lg_u64 s[60:61], 0
	s_mov_b64 s[62:63], -1
	s_cbranch_scc0 .LBB8_326
; %bb.95:
	v_cvt_f32_u32_e32 v40, s46
	v_cvt_f32_u32_e32 v41, s47
	s_sub_u32 s64, 0, s46
	s_subb_u32 s65, 0, s47
	v_madmk_f32 v40, v41, 0x4f800000, v40
	v_rcp_f32_e32 v40, v40
	v_mul_f32_e32 v40, 0x5f7ffffc, v40
	v_mul_f32_e32 v41, 0x2f800000, v40
	v_trunc_f32_e32 v41, v41
	v_madmk_f32 v40, v41, 0xcf800000, v40
	v_cvt_u32_f32_e32 v41, v41
	v_cvt_u32_f32_e32 v40, v40
	v_readfirstlane_b32 s67, v41
	v_readfirstlane_b32 s60, v40
	s_mul_i32 s61, s64, s67
	s_mul_hi_u32 s69, s64, s60
	s_mul_i32 s68, s65, s60
	s_add_i32 s61, s69, s61
	s_add_i32 s61, s61, s68
	s_mul_i32 s70, s64, s60
	s_mul_i32 s69, s60, s61
	s_mul_hi_u32 s71, s60, s70
	s_mul_hi_u32 s68, s60, s61
	s_add_u32 s69, s71, s69
	s_addc_u32 s68, 0, s68
	s_mul_hi_u32 s72, s67, s70
	s_mul_i32 s70, s67, s70
	s_add_u32 s69, s69, s70
	s_mul_hi_u32 s71, s67, s61
	s_addc_u32 s68, s68, s72
	s_addc_u32 s69, s71, 0
	s_mul_i32 s61, s67, s61
	s_add_u32 s61, s68, s61
	s_addc_u32 s68, 0, s69
	s_add_u32 s69, s60, s61
	s_cselect_b64 s[60:61], -1, 0
	s_cmp_lg_u64 s[60:61], 0
	s_addc_u32 s67, s67, s68
	s_mul_i32 s60, s64, s67
	s_mul_hi_u32 s61, s64, s69
	s_add_i32 s60, s61, s60
	s_mul_i32 s65, s65, s69
	s_add_i32 s60, s60, s65
	s_mul_i32 s64, s64, s69
	s_mul_hi_u32 s65, s67, s64
	s_mul_i32 s68, s67, s64
	s_mul_i32 s71, s69, s60
	s_mul_hi_u32 s64, s69, s64
	s_mul_hi_u32 s70, s69, s60
	s_add_u32 s64, s64, s71
	s_addc_u32 s70, 0, s70
	s_add_u32 s64, s64, s68
	s_mul_hi_u32 s61, s67, s60
	s_addc_u32 s64, s70, s65
	s_addc_u32 s61, s61, 0
	s_mul_i32 s60, s67, s60
	s_add_u32 s60, s64, s60
	s_addc_u32 s64, 0, s61
	s_add_u32 s65, s69, s60
	s_cselect_b64 s[60:61], -1, 0
	s_cmp_lg_u64 s[60:61], 0
	s_addc_u32 s60, s67, s64
	s_mul_i32 s64, s36, s60
	s_mul_hi_u32 s67, s36, s65
	s_mul_hi_u32 s61, s36, s60
	s_add_u32 s64, s67, s64
	s_addc_u32 s61, 0, s61
	s_mul_hi_u32 s68, s37, s65
	s_mul_i32 s65, s37, s65
	s_add_u32 s64, s64, s65
	s_mul_hi_u32 s67, s37, s60
	s_addc_u32 s61, s61, s68
	s_addc_u32 s64, s67, 0
	s_mul_i32 s60, s37, s60
	s_add_u32 s67, s61, s60
	s_addc_u32 s68, 0, s64
	s_mul_i32 s60, s46, s68
	s_mul_hi_u32 s61, s46, s67
	s_add_i32 s60, s61, s60
	s_mul_i32 s61, s47, s67
	s_add_i32 s69, s60, s61
	s_sub_i32 s64, s37, s69
	s_mul_i32 s60, s46, s67
	s_sub_u32 s70, s36, s60
	s_cselect_b64 s[60:61], -1, 0
	s_cmp_lg_u64 s[60:61], 0
	s_subb_u32 s71, s64, s47
	s_sub_u32 s72, s70, s46
	s_cselect_b64 s[64:65], -1, 0
	s_cmp_lg_u64 s[64:65], 0
	s_subb_u32 s64, s71, 0
	s_cmp_ge_u32 s64, s47
	s_cselect_b32 s65, -1, 0
	s_cmp_ge_u32 s72, s46
	s_cselect_b32 s71, -1, 0
	s_cmp_eq_u32 s64, s47
	s_cselect_b32 s64, s71, s65
	s_add_u32 s65, s67, 1
	s_addc_u32 s71, s68, 0
	s_add_u32 s72, s67, 2
	s_addc_u32 s73, s68, 0
	s_cmp_lg_u32 s64, 0
	s_cselect_b32 s64, s72, s65
	s_cselect_b32 s65, s73, s71
	s_cmp_lg_u64 s[60:61], 0
	s_subb_u32 s37, s37, s69
	s_cmp_ge_u32 s37, s47
	s_cselect_b32 s60, -1, 0
	s_cmp_ge_u32 s70, s46
	s_cselect_b32 s61, -1, 0
	s_cmp_eq_u32 s37, s47
	s_cselect_b32 s37, s61, s60
	s_cmp_lg_u32 s37, 0
	s_cselect_b32 s61, s65, s68
	s_cselect_b32 s60, s64, s67
	s_cbranch_execnz .LBB8_97
.LBB8_96:
	v_cvt_f32_u32_e32 v40, s46
	s_sub_i32 s37, 0, s46
	s_mov_b32 s61, 0
	v_rcp_iflag_f32_e32 v40, v40
	v_mul_f32_e32 v40, 0x4f7ffffe, v40
	v_cvt_u32_f32_e32 v40, v40
	v_readfirstlane_b32 s60, v40
	s_mul_i32 s37, s37, s60
	s_mul_hi_u32 s37, s60, s37
	s_add_i32 s60, s60, s37
	s_mul_hi_u32 s37, s36, s60
	s_mul_i32 s62, s37, s46
	s_sub_i32 s36, s36, s62
	s_add_i32 s60, s37, 1
	s_sub_i32 s62, s36, s46
	s_cmp_ge_u32 s36, s46
	s_cselect_b32 s37, s60, s37
	s_cselect_b32 s36, s62, s36
	s_add_i32 s60, s37, 1
	s_cmp_ge_u32 s36, s46
	s_cselect_b32 s60, s60, s37
.LBB8_97:
	s_movk_i32 s36, 0xff98
	s_waitcnt lgkmcnt(0)
	v_mov_b32_e32 v80, s61
	v_mad_i32_i24 v39, v0, s36, v39
	v_cmp_ne_u32_e32 vcc, 0, v0
	v_mov_b32_e32 v79, s60
	ds_write_b64 v39, v[7:8] offset:28672
	s_waitcnt lgkmcnt(0)
	s_barrier
	s_and_saveexec_b64 s[36:37], vcc
; %bb.98:
	ds_read_b64 v[79:80], v39 offset:28664
; %bb.99:
	s_or_b64 exec, exec, s[36:37]
	s_waitcnt lgkmcnt(0)
	s_barrier
                                        ; implicit-def: $vgpr40
	s_and_saveexec_b64 s[36:37], s[2:3]
	s_cbranch_execnz .LBB8_200
; %bb.100:
	s_or_b64 exec, exec, s[36:37]
                                        ; implicit-def: $vgpr41
	s_and_saveexec_b64 s[2:3], s[34:35]
	s_cbranch_execnz .LBB8_201
.LBB8_101:
	s_or_b64 exec, exec, s[2:3]
                                        ; implicit-def: $vgpr42
	s_and_saveexec_b64 s[2:3], s[8:9]
	s_cbranch_execnz .LBB8_202
.LBB8_102:
	s_or_b64 exec, exec, s[2:3]
                                        ; implicit-def: $vgpr43
	s_and_saveexec_b64 s[2:3], s[10:11]
	s_cbranch_execnz .LBB8_203
.LBB8_103:
	s_or_b64 exec, exec, s[2:3]
                                        ; implicit-def: $vgpr44
	s_and_saveexec_b64 s[2:3], s[12:13]
	s_cbranch_execnz .LBB8_204
.LBB8_104:
	s_or_b64 exec, exec, s[2:3]
                                        ; implicit-def: $vgpr29
	s_and_saveexec_b64 s[2:3], s[14:15]
	s_cbranch_execnz .LBB8_205
.LBB8_105:
	s_or_b64 exec, exec, s[2:3]
                                        ; implicit-def: $vgpr30
	s_and_saveexec_b64 s[2:3], s[16:17]
	s_cbranch_execnz .LBB8_206
.LBB8_106:
	s_or_b64 exec, exec, s[2:3]
                                        ; implicit-def: $vgpr31
	s_and_saveexec_b64 s[2:3], s[18:19]
	s_cbranch_execnz .LBB8_207
.LBB8_107:
	s_or_b64 exec, exec, s[2:3]
                                        ; implicit-def: $vgpr32
	s_and_saveexec_b64 s[2:3], s[20:21]
	s_cbranch_execnz .LBB8_208
.LBB8_108:
	s_or_b64 exec, exec, s[2:3]
                                        ; implicit-def: $vgpr33
	s_and_saveexec_b64 s[2:3], s[22:23]
	s_cbranch_execnz .LBB8_209
.LBB8_109:
	s_or_b64 exec, exec, s[2:3]
                                        ; implicit-def: $vgpr34
	s_and_saveexec_b64 s[2:3], s[24:25]
	s_cbranch_execnz .LBB8_210
.LBB8_110:
	s_or_b64 exec, exec, s[2:3]
                                        ; implicit-def: $vgpr35
	s_and_saveexec_b64 s[2:3], s[26:27]
	s_cbranch_execnz .LBB8_211
.LBB8_111:
	s_or_b64 exec, exec, s[2:3]
                                        ; implicit-def: $vgpr36
	s_and_saveexec_b64 s[2:3], s[28:29]
	s_cbranch_execnz .LBB8_212
.LBB8_112:
	s_or_b64 exec, exec, s[2:3]
                                        ; implicit-def: $vgpr37
	s_and_saveexec_b64 s[2:3], s[30:31]
	s_cbranch_execz .LBB8_114
.LBB8_113:
	v_lshlrev_b32_e32 v37, 2, v38
	v_mov_b32_e32 v38, s55
	v_add_co_u32_e32 v37, vcc, s7, v37
	v_addc_co_u32_e32 v38, vcc, 0, v38, vcc
	flat_load_dword v37, v[37:38]
.LBB8_114:
	s_or_b64 exec, exec, s[2:3]
	v_lshlrev_b32_e32 v38, 2, v0
	v_sub_u32_e32 v81, v39, v38
	v_mul_u32_u24_e32 v77, 14, v0
	s_waitcnt vmcnt(0) lgkmcnt(0)
	ds_write2st64_b32 v81, v40, v41 offset1:4
	ds_write2st64_b32 v81, v42, v43 offset0:8 offset1:12
	ds_write2st64_b32 v81, v44, v29 offset0:16 offset1:20
	;; [unrolled: 1-line block ×6, first 2 shown]
	v_mov_b32_e32 v29, 0
	v_mov_b32_e32 v55, 0
	;; [unrolled: 1-line block ×24, first 2 shown]
	v_cmp_gt_u32_e32 vcc, s66, v77
	s_mov_b64 s[2:3], 0
	v_mov_b32_e32 v30, 0
	v_mov_b32_e32 v56, 0
	;; [unrolled: 1-line block ×24, first 2 shown]
	s_mov_b64 s[12:13], 0
	s_waitcnt lgkmcnt(0)
	s_barrier
                                        ; implicit-def: $sgpr8_sgpr9
                                        ; implicit-def: $vgpr78
	s_and_saveexec_b64 s[10:11], vcc
	s_cbranch_execz .LBB8_140
; %bb.115:
	v_mad_u32_u24 v29, v0, 52, v81
	ds_read_b32 v29, v29
	v_cmp_ne_u64_e32 vcc, v[79:80], v[25:26]
	v_or_b32_e32 v31, 1, v77
	v_cndmask_b32_e64 v30, 0, 1, vcc
	v_cmp_gt_u32_e32 vcc, s66, v31
	v_mov_b32_e32 v55, 0
	v_mov_b32_e32 v57, 0
	;; [unrolled: 1-line block ×44, first 2 shown]
	s_mov_b64 s[14:15], 0
                                        ; implicit-def: $sgpr8_sgpr9
                                        ; implicit-def: $vgpr78
	s_and_saveexec_b64 s[12:13], vcc
	s_cbranch_execz .LBB8_139
; %bb.116:
	v_mul_u32_u24_e32 v31, 52, v0
	v_add_u32_e32 v51, v81, v31
	ds_read2_b32 v[55:56], v51 offset0:1 offset1:2
	v_cmp_ne_u64_e32 vcc, v[25:26], v[27:28]
	v_add_u32_e32 v26, 2, v77
	v_mov_b32_e32 v57, 0
	v_mov_b32_e32 v59, 0
	;; [unrolled: 1-line block ×20, first 2 shown]
	v_cndmask_b32_e64 v25, 0, 1, vcc
	v_cmp_gt_u32_e32 vcc, s66, v26
	v_mov_b32_e32 v58, 0
	v_mov_b32_e32 v60, 0
	v_mov_b32_e32 v62, 0
	v_mov_b32_e32 v64, 0
	v_mov_b32_e32 v66, 0
	v_mov_b32_e32 v68, 0
	v_mov_b32_e32 v70, 0
	v_mov_b32_e32 v72, 0
	v_mov_b32_e32 v74, 0
	v_mov_b32_e32 v76, 0
	v_mov_b32_e32 v50, 0
	v_mov_b32_e32 v48, 0
	v_mov_b32_e32 v46, 0
	v_mov_b32_e32 v44, 0
	v_mov_b32_e32 v42, 0
	v_mov_b32_e32 v40, 0
	v_mov_b32_e32 v38, 0
	v_mov_b32_e32 v36, 0
	v_mov_b32_e32 v34, 0
	v_mov_b32_e32 v32, 0
	s_mov_b64 s[16:17], 0
                                        ; implicit-def: $sgpr8_sgpr9
                                        ; implicit-def: $vgpr78
	s_and_saveexec_b64 s[14:15], vcc
	s_cbranch_execz .LBB8_138
; %bb.117:
	v_cmp_ne_u64_e32 vcc, v[27:28], v[21:22]
	v_add_u32_e32 v26, 3, v77
	v_mov_b32_e32 v59, 0
	v_mov_b32_e32 v61, 0
	;; [unrolled: 1-line block ×18, first 2 shown]
	v_cndmask_b32_e64 v58, 0, 1, vcc
	v_cmp_gt_u32_e32 vcc, s66, v26
	v_mov_b32_e32 v60, 0
	v_mov_b32_e32 v62, 0
	;; [unrolled: 1-line block ×18, first 2 shown]
	s_mov_b64 s[18:19], 0
                                        ; implicit-def: $sgpr8_sgpr9
                                        ; implicit-def: $vgpr78
	s_and_saveexec_b64 s[16:17], vcc
	s_cbranch_execz .LBB8_137
; %bb.118:
	ds_read2_b32 v[59:60], v51 offset0:3 offset1:4
	v_cmp_ne_u64_e32 vcc, v[21:22], v[23:24]
	v_add_u32_e32 v22, 4, v77
	v_mov_b32_e32 v61, 0
	v_mov_b32_e32 v63, 0
	;; [unrolled: 1-line block ×16, first 2 shown]
	v_cndmask_b32_e64 v21, 0, 1, vcc
	v_cmp_gt_u32_e32 vcc, s66, v22
	v_mov_b32_e32 v62, 0
	v_mov_b32_e32 v64, 0
	;; [unrolled: 1-line block ×16, first 2 shown]
	s_mov_b64 s[20:21], 0
                                        ; implicit-def: $sgpr8_sgpr9
                                        ; implicit-def: $vgpr78
	s_and_saveexec_b64 s[18:19], vcc
	s_cbranch_execz .LBB8_136
; %bb.119:
	v_cmp_ne_u64_e32 vcc, v[23:24], v[17:18]
	v_add_u32_e32 v22, 5, v77
	v_mov_b32_e32 v63, 0
	v_mov_b32_e32 v65, 0
	;; [unrolled: 1-line block ×14, first 2 shown]
	v_cndmask_b32_e64 v62, 0, 1, vcc
	v_cmp_gt_u32_e32 vcc, s66, v22
	v_mov_b32_e32 v64, 0
	v_mov_b32_e32 v66, 0
	;; [unrolled: 1-line block ×14, first 2 shown]
	s_mov_b64 s[22:23], 0
                                        ; implicit-def: $sgpr8_sgpr9
                                        ; implicit-def: $vgpr78
	s_and_saveexec_b64 s[20:21], vcc
	s_cbranch_execz .LBB8_135
; %bb.120:
	ds_read2_b32 v[63:64], v51 offset0:5 offset1:6
	v_cmp_ne_u64_e32 vcc, v[17:18], v[19:20]
	v_add_u32_e32 v18, 6, v77
	v_mov_b32_e32 v65, 0
	v_mov_b32_e32 v67, 0
	v_mov_b32_e32 v69, 0
	v_mov_b32_e32 v71, 0
	v_mov_b32_e32 v73, 0
	v_mov_b32_e32 v75, 0
	v_mov_b32_e32 v41, 0
	v_mov_b32_e32 v39, 0
	v_mov_b32_e32 v37, 0
	v_mov_b32_e32 v35, 0
	v_mov_b32_e32 v33, 0
	v_mov_b32_e32 v31, 0
	v_cndmask_b32_e64 v17, 0, 1, vcc
	v_cmp_gt_u32_e32 vcc, s66, v18
	v_mov_b32_e32 v66, 0
	v_mov_b32_e32 v68, 0
	;; [unrolled: 1-line block ×12, first 2 shown]
	s_mov_b64 s[24:25], 0
                                        ; implicit-def: $sgpr8_sgpr9
                                        ; implicit-def: $vgpr78
	s_and_saveexec_b64 s[22:23], vcc
	s_cbranch_execz .LBB8_134
; %bb.121:
	v_cmp_ne_u64_e32 vcc, v[19:20], v[13:14]
	v_add_u32_e32 v18, 7, v77
	v_mov_b32_e32 v67, 0
	v_mov_b32_e32 v69, 0
	;; [unrolled: 1-line block ×10, first 2 shown]
	v_cndmask_b32_e64 v66, 0, 1, vcc
	v_cmp_gt_u32_e32 vcc, s66, v18
	v_mov_b32_e32 v68, 0
	v_mov_b32_e32 v70, 0
	;; [unrolled: 1-line block ×10, first 2 shown]
	s_mov_b64 s[26:27], 0
                                        ; implicit-def: $sgpr8_sgpr9
                                        ; implicit-def: $vgpr78
	s_and_saveexec_b64 s[24:25], vcc
	s_cbranch_execz .LBB8_133
; %bb.122:
	ds_read2_b32 v[67:68], v51 offset0:7 offset1:8
	v_cmp_ne_u64_e32 vcc, v[13:14], v[15:16]
	v_add_u32_e32 v14, 8, v77
	v_mov_b32_e32 v69, 0
	v_mov_b32_e32 v71, 0
	;; [unrolled: 1-line block ×8, first 2 shown]
	v_cndmask_b32_e64 v13, 0, 1, vcc
	v_cmp_gt_u32_e32 vcc, s66, v14
	v_mov_b32_e32 v70, 0
	v_mov_b32_e32 v72, 0
	v_mov_b32_e32 v74, 0
	v_mov_b32_e32 v76, 0
	v_mov_b32_e32 v38, 0
	v_mov_b32_e32 v36, 0
	v_mov_b32_e32 v34, 0
	v_mov_b32_e32 v32, 0
	s_mov_b64 s[28:29], 0
                                        ; implicit-def: $sgpr8_sgpr9
                                        ; implicit-def: $vgpr78
	s_and_saveexec_b64 s[26:27], vcc
	s_cbranch_execz .LBB8_132
; %bb.123:
	v_cmp_ne_u64_e32 vcc, v[15:16], v[9:10]
	v_add_u32_e32 v14, 9, v77
	v_mov_b32_e32 v71, 0
	v_mov_b32_e32 v73, 0
	;; [unrolled: 1-line block ×6, first 2 shown]
	v_cndmask_b32_e64 v70, 0, 1, vcc
	v_cmp_gt_u32_e32 vcc, s66, v14
	v_mov_b32_e32 v72, 0
	v_mov_b32_e32 v74, 0
	;; [unrolled: 1-line block ×6, first 2 shown]
	s_mov_b64 s[30:31], 0
                                        ; implicit-def: $sgpr8_sgpr9
                                        ; implicit-def: $vgpr78
	s_and_saveexec_b64 s[28:29], vcc
	s_cbranch_execz .LBB8_131
; %bb.124:
	ds_read2_b32 v[71:72], v51 offset0:9 offset1:10
	v_cmp_ne_u64_e32 vcc, v[9:10], v[11:12]
	v_add_u32_e32 v10, 10, v77
	v_mov_b32_e32 v73, 0
	v_mov_b32_e32 v75, 0
	;; [unrolled: 1-line block ×4, first 2 shown]
	v_cndmask_b32_e64 v9, 0, 1, vcc
	v_cmp_gt_u32_e32 vcc, s66, v10
	v_mov_b32_e32 v74, 0
	v_mov_b32_e32 v76, 0
	;; [unrolled: 1-line block ×4, first 2 shown]
	s_mov_b64 s[34:35], 0
                                        ; implicit-def: $sgpr8_sgpr9
                                        ; implicit-def: $vgpr78
	s_and_saveexec_b64 s[30:31], vcc
	s_cbranch_execz .LBB8_130
; %bb.125:
	v_cmp_ne_u64_e32 vcc, v[11:12], v[1:2]
	v_add_u32_e32 v10, 11, v77
	v_mov_b32_e32 v75, 0
	v_mov_b32_e32 v31, 0
	v_cndmask_b32_e64 v74, 0, 1, vcc
	v_cmp_gt_u32_e32 vcc, s66, v10
	v_mov_b32_e32 v76, 0
	v_mov_b32_e32 v32, 0
	s_mov_b64 s[36:37], 0
                                        ; implicit-def: $sgpr8_sgpr9
                                        ; implicit-def: $vgpr78
	s_and_saveexec_b64 s[34:35], vcc
	s_cbranch_execz .LBB8_129
; %bb.126:
	ds_read2_b32 v[75:76], v51 offset0:11 offset1:12
	v_cmp_ne_u64_e32 vcc, v[1:2], v[3:4]
	v_add_u32_e32 v2, 12, v77
	v_mov_b32_e32 v31, 0
	v_cndmask_b32_e64 v1, 0, 1, vcc
	v_cmp_gt_u32_e32 vcc, s66, v2
	v_mov_b32_e32 v32, 0
                                        ; implicit-def: $sgpr8_sgpr9
                                        ; implicit-def: $vgpr78
	s_and_saveexec_b64 s[60:61], vcc
	s_xor_b64 s[60:61], exec, s[60:61]
	s_cbranch_execz .LBB8_128
; %bb.127:
	ds_read_b32 v78, v51 offset:52
	v_cmp_ne_u64_e32 vcc, v[3:4], v[5:6]
	v_add_u32_e32 v2, 13, v77
	v_cmp_ne_u64_e64 s[8:9], v[5:6], v[7:8]
	v_cndmask_b32_e64 v32, 0, 1, vcc
	v_cmp_gt_u32_e32 vcc, s66, v2
	s_waitcnt lgkmcnt(1)
	v_mov_b32_e32 v31, v76
	s_and_b64 s[36:37], vcc, exec
.LBB8_128:
	s_or_b64 exec, exec, s[60:61]
	s_waitcnt lgkmcnt(0)
	v_mov_b32_e32 v76, v1
	s_and_b64 s[36:37], s[36:37], exec
.LBB8_129:
	s_or_b64 exec, exec, s[34:35]
	v_mov_b32_e32 v33, v75
	s_waitcnt lgkmcnt(0)
	v_mov_b32_e32 v73, v72
	s_and_b64 s[34:35], s[36:37], exec
	v_mov_b32_e32 v34, v76
.LBB8_130:
	s_or_b64 exec, exec, s[30:31]
	v_mov_b32_e32 v35, v73
	s_waitcnt lgkmcnt(0)
	v_mov_b32_e32 v72, v9
	s_and_b64 s[30:31], s[34:35], exec
	v_mov_b32_e32 v36, v74
.LBB8_131:
	s_or_b64 exec, exec, s[28:29]
	v_mov_b32_e32 v37, v71
	s_waitcnt lgkmcnt(0)
	v_mov_b32_e32 v69, v68
	s_and_b64 s[28:29], s[30:31], exec
	v_mov_b32_e32 v38, v72
.LBB8_132:
	s_or_b64 exec, exec, s[26:27]
	v_mov_b32_e32 v39, v69
	s_waitcnt lgkmcnt(0)
	v_mov_b32_e32 v68, v13
	s_and_b64 s[26:27], s[28:29], exec
	v_mov_b32_e32 v40, v70
.LBB8_133:
	s_or_b64 exec, exec, s[24:25]
	v_mov_b32_e32 v41, v67
	s_waitcnt lgkmcnt(0)
	v_mov_b32_e32 v65, v64
	s_and_b64 s[24:25], s[26:27], exec
	v_mov_b32_e32 v42, v68
.LBB8_134:
	s_or_b64 exec, exec, s[22:23]
	v_mov_b32_e32 v43, v65
	s_waitcnt lgkmcnt(0)
	v_mov_b32_e32 v64, v17
	s_and_b64 s[22:23], s[24:25], exec
	v_mov_b32_e32 v44, v66
.LBB8_135:
	s_or_b64 exec, exec, s[20:21]
	v_mov_b32_e32 v45, v63
	s_waitcnt lgkmcnt(0)
	v_mov_b32_e32 v61, v60
	s_and_b64 s[20:21], s[22:23], exec
	v_mov_b32_e32 v46, v64
.LBB8_136:
	s_or_b64 exec, exec, s[18:19]
	v_mov_b32_e32 v47, v61
	s_waitcnt lgkmcnt(0)
	v_mov_b32_e32 v60, v21
	s_and_b64 s[18:19], s[20:21], exec
	v_mov_b32_e32 v48, v62
.LBB8_137:
	s_or_b64 exec, exec, s[16:17]
	v_mov_b32_e32 v49, v59
	s_waitcnt lgkmcnt(0)
	v_mov_b32_e32 v57, v56
	s_and_b64 s[16:17], s[18:19], exec
	v_mov_b32_e32 v50, v60
.LBB8_138:
	s_or_b64 exec, exec, s[14:15]
	v_mov_b32_e32 v51, v57
	s_waitcnt lgkmcnt(0)
	v_mov_b32_e32 v56, v25
	s_and_b64 s[14:15], s[16:17], exec
	v_mov_b32_e32 v52, v58
.LBB8_139:
	s_or_b64 exec, exec, s[12:13]
	v_mov_b32_e32 v53, v55
	s_and_b64 s[12:13], s[14:15], exec
	v_mov_b32_e32 v54, v56
.LBB8_140:
	s_or_b64 exec, exec, s[10:11]
	s_and_b64 vcc, exec, s[2:3]
	s_cbranch_vccz .LBB8_225
.LBB8_141:
	v_mov_b32_e32 v2, s45
	v_add_co_u32_e32 v28, vcc, s44, v0
	v_addc_co_u32_e32 v27, vcc, 0, v2, vcc
	v_mov_b32_e32 v1, 0
	v_or_b32_e32 v2, s47, v27
	v_cmp_ne_u64_e32 vcc, 0, v[1:2]
                                        ; implicit-def: $vgpr1_vgpr2
	s_and_saveexec_b64 s[2:3], vcc
	s_xor_b64 s[8:9], exec, s[2:3]
	s_cbranch_execz .LBB8_143
; %bb.142:
	v_cvt_f32_u32_e32 v1, s46
	v_cvt_f32_u32_e32 v2, s47
	s_sub_u32 s10, 0, s46
	s_subb_u32 s11, 0, s47
	v_madmk_f32 v1, v2, 0x4f800000, v1
	v_rcp_f32_e32 v1, v1
	v_mul_f32_e32 v1, 0x5f7ffffc, v1
	v_mul_f32_e32 v2, 0x2f800000, v1
	v_trunc_f32_e32 v2, v2
	v_madmk_f32 v1, v2, 0xcf800000, v1
	v_cvt_u32_f32_e32 v2, v2
	v_cvt_u32_f32_e32 v1, v1
	v_readfirstlane_b32 s12, v2
	v_readfirstlane_b32 s2, v1
	s_mul_i32 s3, s10, s12
	s_mul_hi_u32 s14, s10, s2
	s_mul_i32 s13, s11, s2
	s_add_i32 s3, s14, s3
	s_mul_i32 s15, s10, s2
	s_add_i32 s3, s3, s13
	s_mul_i32 s14, s2, s3
	s_mul_hi_u32 s16, s2, s15
	s_mul_hi_u32 s13, s2, s3
	s_add_u32 s14, s16, s14
	s_addc_u32 s13, 0, s13
	s_mul_hi_u32 s17, s12, s15
	s_mul_i32 s15, s12, s15
	s_add_u32 s14, s14, s15
	s_mul_hi_u32 s16, s12, s3
	s_addc_u32 s13, s13, s17
	s_addc_u32 s14, s16, 0
	s_mul_i32 s3, s12, s3
	s_add_u32 s3, s13, s3
	s_addc_u32 s13, 0, s14
	s_add_u32 s14, s2, s3
	s_cselect_b64 s[2:3], -1, 0
	s_cmp_lg_u64 s[2:3], 0
	s_addc_u32 s12, s12, s13
	s_mul_i32 s2, s10, s12
	s_mul_hi_u32 s3, s10, s14
	s_add_i32 s2, s3, s2
	s_mul_i32 s11, s11, s14
	s_add_i32 s2, s2, s11
	s_mul_i32 s10, s10, s14
	s_mul_hi_u32 s11, s12, s10
	s_mul_i32 s13, s12, s10
	s_mul_i32 s16, s14, s2
	s_mul_hi_u32 s10, s14, s10
	s_mul_hi_u32 s15, s14, s2
	s_add_u32 s10, s10, s16
	s_addc_u32 s15, 0, s15
	s_add_u32 s10, s10, s13
	s_mul_hi_u32 s3, s12, s2
	s_addc_u32 s10, s15, s11
	s_addc_u32 s3, s3, 0
	s_mul_i32 s2, s12, s2
	s_add_u32 s2, s10, s2
	s_addc_u32 s10, 0, s3
	s_add_u32 s11, s14, s2
	s_cselect_b64 s[2:3], -1, 0
	s_cmp_lg_u64 s[2:3], 0
	s_addc_u32 s10, s12, s10
	v_mad_u64_u32 v[1:2], s[2:3], v28, s10, 0
	v_mul_hi_u32 v3, v28, s11
	v_add_co_u32_e32 v5, vcc, v3, v1
	v_addc_co_u32_e32 v6, vcc, 0, v2, vcc
	v_mad_u64_u32 v[1:2], s[2:3], v27, s11, 0
	v_mad_u64_u32 v[3:4], s[2:3], v27, s10, 0
	v_add_co_u32_e32 v1, vcc, v5, v1
	v_addc_co_u32_e32 v1, vcc, v6, v2, vcc
	v_addc_co_u32_e32 v2, vcc, 0, v4, vcc
	v_add_co_u32_e32 v3, vcc, v1, v3
	v_addc_co_u32_e32 v4, vcc, 0, v2, vcc
	v_mul_lo_u32 v5, s47, v3
	v_mul_lo_u32 v6, s46, v4
	v_mad_u64_u32 v[1:2], s[2:3], s46, v3, 0
	v_add3_u32 v2, v2, v6, v5
	v_sub_u32_e32 v5, v27, v2
	v_mov_b32_e32 v6, s47
	v_sub_co_u32_e32 v1, vcc, v28, v1
	v_subb_co_u32_e64 v5, s[2:3], v5, v6, vcc
	v_subrev_co_u32_e64 v6, s[2:3], s46, v1
	v_subbrev_co_u32_e64 v5, s[2:3], 0, v5, s[2:3]
	v_cmp_le_u32_e64 s[2:3], s47, v5
	v_cndmask_b32_e64 v7, 0, -1, s[2:3]
	v_cmp_le_u32_e64 s[2:3], s46, v6
	v_cndmask_b32_e64 v6, 0, -1, s[2:3]
	v_cmp_eq_u32_e64 s[2:3], s47, v5
	v_cndmask_b32_e64 v5, v7, v6, s[2:3]
	v_add_co_u32_e64 v6, s[2:3], 2, v3
	v_addc_co_u32_e64 v7, s[2:3], 0, v4, s[2:3]
	v_add_co_u32_e64 v8, s[2:3], 1, v3
	v_addc_co_u32_e64 v9, s[2:3], 0, v4, s[2:3]
	v_subb_co_u32_e32 v2, vcc, v27, v2, vcc
	v_cmp_ne_u32_e64 s[2:3], 0, v5
	v_cmp_le_u32_e32 vcc, s47, v2
	v_cndmask_b32_e64 v5, v9, v7, s[2:3]
	v_cndmask_b32_e64 v7, 0, -1, vcc
	v_cmp_le_u32_e32 vcc, s46, v1
	v_cndmask_b32_e64 v1, 0, -1, vcc
	v_cmp_eq_u32_e32 vcc, s47, v2
	v_cndmask_b32_e32 v1, v7, v1, vcc
	v_cmp_ne_u32_e32 vcc, 0, v1
	v_cndmask_b32_e64 v1, v8, v6, s[2:3]
	v_cndmask_b32_e32 v2, v4, v5, vcc
	v_cndmask_b32_e32 v1, v3, v1, vcc
.LBB8_143:
	s_andn2_saveexec_b64 s[2:3], s[8:9]
	s_cbranch_execz .LBB8_145
; %bb.144:
	v_cvt_f32_u32_e32 v1, s46
	s_sub_i32 s8, 0, s46
	v_rcp_iflag_f32_e32 v1, v1
	v_mul_f32_e32 v1, 0x4f7ffffe, v1
	v_cvt_u32_f32_e32 v1, v1
	v_mul_lo_u32 v2, s8, v1
	v_mul_hi_u32 v2, v1, v2
	v_add_u32_e32 v1, v1, v2
	v_mul_hi_u32 v1, v28, v1
	v_mul_lo_u32 v2, v1, s46
	v_add_u32_e32 v3, 1, v1
	v_sub_u32_e32 v2, v28, v2
	v_subrev_u32_e32 v4, s46, v2
	v_cmp_le_u32_e32 vcc, s46, v2
	v_cndmask_b32_e32 v2, v2, v4, vcc
	v_cndmask_b32_e32 v1, v1, v3, vcc
	v_add_u32_e32 v3, 1, v1
	v_cmp_le_u32_e32 vcc, s46, v2
	v_cndmask_b32_e32 v1, v1, v3, vcc
	v_mov_b32_e32 v2, 0
.LBB8_145:
	s_or_b64 exec, exec, s[2:3]
	v_add_co_u32_e32 v5, vcc, 0x100, v28
	v_addc_co_u32_e32 v6, vcc, 0, v27, vcc
	v_or_b32_e32 v4, s47, v6
	v_mov_b32_e32 v3, 0
	v_cmp_ne_u64_e32 vcc, 0, v[3:4]
                                        ; implicit-def: $vgpr3_vgpr4
	s_and_saveexec_b64 s[2:3], vcc
	s_xor_b64 s[8:9], exec, s[2:3]
	s_cbranch_execz .LBB8_147
; %bb.146:
	v_cvt_f32_u32_e32 v3, s46
	v_cvt_f32_u32_e32 v4, s47
	s_sub_u32 s10, 0, s46
	s_subb_u32 s11, 0, s47
	v_madmk_f32 v3, v4, 0x4f800000, v3
	v_rcp_f32_e32 v3, v3
	v_mul_f32_e32 v3, 0x5f7ffffc, v3
	v_mul_f32_e32 v4, 0x2f800000, v3
	v_trunc_f32_e32 v4, v4
	v_madmk_f32 v3, v4, 0xcf800000, v3
	v_cvt_u32_f32_e32 v4, v4
	v_cvt_u32_f32_e32 v3, v3
	v_readfirstlane_b32 s12, v4
	v_readfirstlane_b32 s2, v3
	s_mul_i32 s3, s10, s12
	s_mul_hi_u32 s14, s10, s2
	s_mul_i32 s13, s11, s2
	s_add_i32 s3, s14, s3
	s_mul_i32 s15, s10, s2
	s_add_i32 s3, s3, s13
	s_mul_i32 s14, s2, s3
	s_mul_hi_u32 s16, s2, s15
	s_mul_hi_u32 s13, s2, s3
	s_add_u32 s14, s16, s14
	s_addc_u32 s13, 0, s13
	s_mul_hi_u32 s17, s12, s15
	s_mul_i32 s15, s12, s15
	s_add_u32 s14, s14, s15
	s_mul_hi_u32 s16, s12, s3
	s_addc_u32 s13, s13, s17
	s_addc_u32 s14, s16, 0
	s_mul_i32 s3, s12, s3
	s_add_u32 s3, s13, s3
	s_addc_u32 s13, 0, s14
	s_add_u32 s14, s2, s3
	s_cselect_b64 s[2:3], -1, 0
	s_cmp_lg_u64 s[2:3], 0
	s_addc_u32 s12, s12, s13
	s_mul_i32 s2, s10, s12
	s_mul_hi_u32 s3, s10, s14
	s_add_i32 s2, s3, s2
	s_mul_i32 s11, s11, s14
	s_add_i32 s2, s2, s11
	s_mul_i32 s10, s10, s14
	s_mul_hi_u32 s11, s12, s10
	s_mul_i32 s13, s12, s10
	s_mul_i32 s16, s14, s2
	s_mul_hi_u32 s10, s14, s10
	s_mul_hi_u32 s15, s14, s2
	s_add_u32 s10, s10, s16
	s_addc_u32 s15, 0, s15
	s_add_u32 s10, s10, s13
	s_mul_hi_u32 s3, s12, s2
	s_addc_u32 s10, s15, s11
	s_addc_u32 s3, s3, 0
	s_mul_i32 s2, s12, s2
	s_add_u32 s2, s10, s2
	s_addc_u32 s10, 0, s3
	s_add_u32 s11, s14, s2
	s_cselect_b64 s[2:3], -1, 0
	s_cmp_lg_u64 s[2:3], 0
	s_addc_u32 s10, s12, s10
	v_mad_u64_u32 v[3:4], s[2:3], v5, s10, 0
	v_mul_hi_u32 v7, v5, s11
	v_add_co_u32_e32 v9, vcc, v7, v3
	v_addc_co_u32_e32 v10, vcc, 0, v4, vcc
	v_mad_u64_u32 v[3:4], s[2:3], v6, s11, 0
	v_mad_u64_u32 v[7:8], s[2:3], v6, s10, 0
	v_add_co_u32_e32 v3, vcc, v9, v3
	v_addc_co_u32_e32 v3, vcc, v10, v4, vcc
	v_addc_co_u32_e32 v4, vcc, 0, v8, vcc
	v_add_co_u32_e32 v7, vcc, v3, v7
	v_addc_co_u32_e32 v8, vcc, 0, v4, vcc
	v_mul_lo_u32 v9, s47, v7
	v_mul_lo_u32 v10, s46, v8
	v_mad_u64_u32 v[3:4], s[2:3], s46, v7, 0
	v_add3_u32 v4, v4, v10, v9
	v_sub_u32_e32 v9, v6, v4
	v_mov_b32_e32 v10, s47
	v_sub_co_u32_e32 v3, vcc, v5, v3
	v_subb_co_u32_e64 v5, s[2:3], v9, v10, vcc
	v_subrev_co_u32_e64 v9, s[2:3], s46, v3
	v_subbrev_co_u32_e64 v5, s[2:3], 0, v5, s[2:3]
	v_cmp_le_u32_e64 s[2:3], s47, v5
	v_cndmask_b32_e64 v10, 0, -1, s[2:3]
	v_cmp_le_u32_e64 s[2:3], s46, v9
	v_cndmask_b32_e64 v9, 0, -1, s[2:3]
	v_cmp_eq_u32_e64 s[2:3], s47, v5
	v_cndmask_b32_e64 v5, v10, v9, s[2:3]
	v_add_co_u32_e64 v9, s[2:3], 2, v7
	v_subb_co_u32_e32 v4, vcc, v6, v4, vcc
	v_addc_co_u32_e64 v10, s[2:3], 0, v8, s[2:3]
	v_cmp_le_u32_e32 vcc, s47, v4
	v_add_co_u32_e64 v11, s[2:3], 1, v7
	v_cndmask_b32_e64 v6, 0, -1, vcc
	v_cmp_le_u32_e32 vcc, s46, v3
	v_addc_co_u32_e64 v12, s[2:3], 0, v8, s[2:3]
	v_cndmask_b32_e64 v3, 0, -1, vcc
	v_cmp_eq_u32_e32 vcc, s47, v4
	v_cmp_ne_u32_e64 s[2:3], 0, v5
	v_cndmask_b32_e32 v3, v6, v3, vcc
	v_cndmask_b32_e64 v5, v12, v10, s[2:3]
	v_cmp_ne_u32_e32 vcc, 0, v3
	v_cndmask_b32_e64 v3, v11, v9, s[2:3]
	v_cndmask_b32_e32 v4, v8, v5, vcc
	v_cndmask_b32_e32 v3, v7, v3, vcc
                                        ; implicit-def: $vgpr5
.LBB8_147:
	s_andn2_saveexec_b64 s[2:3], s[8:9]
	s_cbranch_execz .LBB8_149
; %bb.148:
	v_cvt_f32_u32_e32 v3, s46
	s_sub_i32 s8, 0, s46
	v_rcp_iflag_f32_e32 v3, v3
	v_mul_f32_e32 v3, 0x4f7ffffe, v3
	v_cvt_u32_f32_e32 v3, v3
	v_mul_lo_u32 v4, s8, v3
	v_mul_hi_u32 v4, v3, v4
	v_add_u32_e32 v3, v3, v4
	v_mul_hi_u32 v3, v5, v3
	v_mul_lo_u32 v4, v3, s46
	v_add_u32_e32 v6, 1, v3
	v_sub_u32_e32 v4, v5, v4
	v_subrev_u32_e32 v5, s46, v4
	v_cmp_le_u32_e32 vcc, s46, v4
	v_cndmask_b32_e32 v4, v4, v5, vcc
	v_cndmask_b32_e32 v3, v3, v6, vcc
	v_add_u32_e32 v5, 1, v3
	v_cmp_le_u32_e32 vcc, s46, v4
	v_cndmask_b32_e32 v3, v3, v5, vcc
	v_mov_b32_e32 v4, 0
.LBB8_149:
	s_or_b64 exec, exec, s[2:3]
	v_add_co_u32_e32 v7, vcc, 0x200, v28
	v_addc_co_u32_e32 v8, vcc, 0, v27, vcc
	v_or_b32_e32 v6, s47, v8
	v_mov_b32_e32 v5, 0
	v_cmp_ne_u64_e32 vcc, 0, v[5:6]
                                        ; implicit-def: $vgpr5_vgpr6
	s_and_saveexec_b64 s[2:3], vcc
	s_xor_b64 s[8:9], exec, s[2:3]
	s_cbranch_execz .LBB8_151
; %bb.150:
	v_cvt_f32_u32_e32 v5, s46
	v_cvt_f32_u32_e32 v6, s47
	s_sub_u32 s10, 0, s46
	s_subb_u32 s11, 0, s47
	v_madmk_f32 v5, v6, 0x4f800000, v5
	v_rcp_f32_e32 v5, v5
	v_mul_f32_e32 v5, 0x5f7ffffc, v5
	v_mul_f32_e32 v6, 0x2f800000, v5
	v_trunc_f32_e32 v6, v6
	v_madmk_f32 v5, v6, 0xcf800000, v5
	v_cvt_u32_f32_e32 v6, v6
	v_cvt_u32_f32_e32 v5, v5
	v_readfirstlane_b32 s12, v6
	v_readfirstlane_b32 s2, v5
	s_mul_i32 s3, s10, s12
	s_mul_hi_u32 s14, s10, s2
	s_mul_i32 s13, s11, s2
	s_add_i32 s3, s14, s3
	s_mul_i32 s15, s10, s2
	s_add_i32 s3, s3, s13
	s_mul_i32 s14, s2, s3
	s_mul_hi_u32 s16, s2, s15
	s_mul_hi_u32 s13, s2, s3
	s_add_u32 s14, s16, s14
	s_addc_u32 s13, 0, s13
	s_mul_hi_u32 s17, s12, s15
	s_mul_i32 s15, s12, s15
	s_add_u32 s14, s14, s15
	s_mul_hi_u32 s16, s12, s3
	s_addc_u32 s13, s13, s17
	s_addc_u32 s14, s16, 0
	s_mul_i32 s3, s12, s3
	s_add_u32 s3, s13, s3
	s_addc_u32 s13, 0, s14
	s_add_u32 s14, s2, s3
	s_cselect_b64 s[2:3], -1, 0
	s_cmp_lg_u64 s[2:3], 0
	s_addc_u32 s12, s12, s13
	s_mul_i32 s2, s10, s12
	s_mul_hi_u32 s3, s10, s14
	s_add_i32 s2, s3, s2
	s_mul_i32 s11, s11, s14
	s_add_i32 s2, s2, s11
	s_mul_i32 s10, s10, s14
	s_mul_hi_u32 s11, s12, s10
	s_mul_i32 s13, s12, s10
	s_mul_i32 s16, s14, s2
	s_mul_hi_u32 s10, s14, s10
	s_mul_hi_u32 s15, s14, s2
	s_add_u32 s10, s10, s16
	s_addc_u32 s15, 0, s15
	s_add_u32 s10, s10, s13
	s_mul_hi_u32 s3, s12, s2
	s_addc_u32 s10, s15, s11
	s_addc_u32 s3, s3, 0
	s_mul_i32 s2, s12, s2
	s_add_u32 s2, s10, s2
	s_addc_u32 s10, 0, s3
	s_add_u32 s11, s14, s2
	s_cselect_b64 s[2:3], -1, 0
	s_cmp_lg_u64 s[2:3], 0
	s_addc_u32 s10, s12, s10
	v_mad_u64_u32 v[5:6], s[2:3], v7, s10, 0
	v_mul_hi_u32 v9, v7, s11
	v_add_co_u32_e32 v11, vcc, v9, v5
	v_addc_co_u32_e32 v12, vcc, 0, v6, vcc
	v_mad_u64_u32 v[5:6], s[2:3], v8, s11, 0
	v_mad_u64_u32 v[9:10], s[2:3], v8, s10, 0
	v_add_co_u32_e32 v5, vcc, v11, v5
	v_addc_co_u32_e32 v5, vcc, v12, v6, vcc
	v_addc_co_u32_e32 v6, vcc, 0, v10, vcc
	v_add_co_u32_e32 v9, vcc, v5, v9
	v_addc_co_u32_e32 v10, vcc, 0, v6, vcc
	v_mul_lo_u32 v11, s47, v9
	v_mul_lo_u32 v12, s46, v10
	v_mad_u64_u32 v[5:6], s[2:3], s46, v9, 0
	v_add3_u32 v6, v6, v12, v11
	v_sub_u32_e32 v11, v8, v6
	v_mov_b32_e32 v12, s47
	v_sub_co_u32_e32 v5, vcc, v7, v5
	v_subb_co_u32_e64 v7, s[2:3], v11, v12, vcc
	v_subrev_co_u32_e64 v11, s[2:3], s46, v5
	v_subbrev_co_u32_e64 v7, s[2:3], 0, v7, s[2:3]
	v_cmp_le_u32_e64 s[2:3], s47, v7
	v_cndmask_b32_e64 v12, 0, -1, s[2:3]
	v_cmp_le_u32_e64 s[2:3], s46, v11
	v_cndmask_b32_e64 v11, 0, -1, s[2:3]
	v_cmp_eq_u32_e64 s[2:3], s47, v7
	v_cndmask_b32_e64 v7, v12, v11, s[2:3]
	v_add_co_u32_e64 v11, s[2:3], 2, v9
	v_subb_co_u32_e32 v6, vcc, v8, v6, vcc
	v_addc_co_u32_e64 v12, s[2:3], 0, v10, s[2:3]
	v_cmp_le_u32_e32 vcc, s47, v6
	v_add_co_u32_e64 v13, s[2:3], 1, v9
	v_cndmask_b32_e64 v8, 0, -1, vcc
	v_cmp_le_u32_e32 vcc, s46, v5
	v_addc_co_u32_e64 v14, s[2:3], 0, v10, s[2:3]
	v_cndmask_b32_e64 v5, 0, -1, vcc
	v_cmp_eq_u32_e32 vcc, s47, v6
	v_cmp_ne_u32_e64 s[2:3], 0, v7
	v_cndmask_b32_e32 v5, v8, v5, vcc
	v_cndmask_b32_e64 v7, v14, v12, s[2:3]
	v_cmp_ne_u32_e32 vcc, 0, v5
	v_cndmask_b32_e64 v5, v13, v11, s[2:3]
	v_cndmask_b32_e32 v6, v10, v7, vcc
	v_cndmask_b32_e32 v5, v9, v5, vcc
                                        ; implicit-def: $vgpr7
.LBB8_151:
	s_andn2_saveexec_b64 s[2:3], s[8:9]
	s_cbranch_execz .LBB8_153
; %bb.152:
	v_cvt_f32_u32_e32 v5, s46
	s_sub_i32 s8, 0, s46
	v_rcp_iflag_f32_e32 v5, v5
	v_mul_f32_e32 v5, 0x4f7ffffe, v5
	v_cvt_u32_f32_e32 v5, v5
	v_mul_lo_u32 v6, s8, v5
	v_mul_hi_u32 v6, v5, v6
	v_add_u32_e32 v5, v5, v6
	v_mul_hi_u32 v5, v7, v5
	v_mul_lo_u32 v6, v5, s46
	v_add_u32_e32 v8, 1, v5
	v_sub_u32_e32 v6, v7, v6
	v_subrev_u32_e32 v7, s46, v6
	v_cmp_le_u32_e32 vcc, s46, v6
	v_cndmask_b32_e32 v6, v6, v7, vcc
	v_cndmask_b32_e32 v5, v5, v8, vcc
	v_add_u32_e32 v7, 1, v5
	v_cmp_le_u32_e32 vcc, s46, v6
	v_cndmask_b32_e32 v5, v5, v7, vcc
	v_mov_b32_e32 v6, 0
.LBB8_153:
	s_or_b64 exec, exec, s[2:3]
	v_add_co_u32_e32 v9, vcc, 0x300, v28
	v_addc_co_u32_e32 v10, vcc, 0, v27, vcc
	v_or_b32_e32 v8, s47, v10
	v_mov_b32_e32 v7, 0
	v_cmp_ne_u64_e32 vcc, 0, v[7:8]
                                        ; implicit-def: $vgpr7_vgpr8
	s_and_saveexec_b64 s[2:3], vcc
	s_xor_b64 s[8:9], exec, s[2:3]
	s_cbranch_execz .LBB8_155
; %bb.154:
	v_cvt_f32_u32_e32 v7, s46
	v_cvt_f32_u32_e32 v8, s47
	s_sub_u32 s10, 0, s46
	s_subb_u32 s11, 0, s47
	v_madmk_f32 v7, v8, 0x4f800000, v7
	v_rcp_f32_e32 v7, v7
	v_mul_f32_e32 v7, 0x5f7ffffc, v7
	v_mul_f32_e32 v8, 0x2f800000, v7
	v_trunc_f32_e32 v8, v8
	v_madmk_f32 v7, v8, 0xcf800000, v7
	v_cvt_u32_f32_e32 v8, v8
	v_cvt_u32_f32_e32 v7, v7
	v_readfirstlane_b32 s12, v8
	v_readfirstlane_b32 s2, v7
	s_mul_i32 s3, s10, s12
	s_mul_hi_u32 s14, s10, s2
	s_mul_i32 s13, s11, s2
	s_add_i32 s3, s14, s3
	s_mul_i32 s15, s10, s2
	s_add_i32 s3, s3, s13
	s_mul_i32 s14, s2, s3
	s_mul_hi_u32 s16, s2, s15
	s_mul_hi_u32 s13, s2, s3
	s_add_u32 s14, s16, s14
	s_addc_u32 s13, 0, s13
	s_mul_hi_u32 s17, s12, s15
	s_mul_i32 s15, s12, s15
	s_add_u32 s14, s14, s15
	s_mul_hi_u32 s16, s12, s3
	s_addc_u32 s13, s13, s17
	s_addc_u32 s14, s16, 0
	s_mul_i32 s3, s12, s3
	s_add_u32 s3, s13, s3
	s_addc_u32 s13, 0, s14
	s_add_u32 s14, s2, s3
	s_cselect_b64 s[2:3], -1, 0
	s_cmp_lg_u64 s[2:3], 0
	s_addc_u32 s12, s12, s13
	s_mul_i32 s2, s10, s12
	s_mul_hi_u32 s3, s10, s14
	s_add_i32 s2, s3, s2
	s_mul_i32 s11, s11, s14
	s_add_i32 s2, s2, s11
	s_mul_i32 s10, s10, s14
	s_mul_hi_u32 s11, s12, s10
	s_mul_i32 s13, s12, s10
	s_mul_i32 s16, s14, s2
	s_mul_hi_u32 s10, s14, s10
	s_mul_hi_u32 s15, s14, s2
	s_add_u32 s10, s10, s16
	s_addc_u32 s15, 0, s15
	s_add_u32 s10, s10, s13
	s_mul_hi_u32 s3, s12, s2
	s_addc_u32 s10, s15, s11
	s_addc_u32 s3, s3, 0
	s_mul_i32 s2, s12, s2
	s_add_u32 s2, s10, s2
	s_addc_u32 s10, 0, s3
	s_add_u32 s11, s14, s2
	s_cselect_b64 s[2:3], -1, 0
	s_cmp_lg_u64 s[2:3], 0
	s_addc_u32 s10, s12, s10
	v_mad_u64_u32 v[7:8], s[2:3], v9, s10, 0
	v_mul_hi_u32 v11, v9, s11
	v_add_co_u32_e32 v13, vcc, v11, v7
	v_addc_co_u32_e32 v14, vcc, 0, v8, vcc
	v_mad_u64_u32 v[7:8], s[2:3], v10, s11, 0
	v_mad_u64_u32 v[11:12], s[2:3], v10, s10, 0
	v_add_co_u32_e32 v7, vcc, v13, v7
	v_addc_co_u32_e32 v7, vcc, v14, v8, vcc
	v_addc_co_u32_e32 v8, vcc, 0, v12, vcc
	v_add_co_u32_e32 v11, vcc, v7, v11
	v_addc_co_u32_e32 v12, vcc, 0, v8, vcc
	v_mul_lo_u32 v13, s47, v11
	v_mul_lo_u32 v14, s46, v12
	v_mad_u64_u32 v[7:8], s[2:3], s46, v11, 0
	v_add3_u32 v8, v8, v14, v13
	v_sub_u32_e32 v13, v10, v8
	v_mov_b32_e32 v14, s47
	v_sub_co_u32_e32 v7, vcc, v9, v7
	v_subb_co_u32_e64 v9, s[2:3], v13, v14, vcc
	v_subrev_co_u32_e64 v13, s[2:3], s46, v7
	v_subbrev_co_u32_e64 v9, s[2:3], 0, v9, s[2:3]
	v_cmp_le_u32_e64 s[2:3], s47, v9
	v_cndmask_b32_e64 v14, 0, -1, s[2:3]
	v_cmp_le_u32_e64 s[2:3], s46, v13
	v_cndmask_b32_e64 v13, 0, -1, s[2:3]
	v_cmp_eq_u32_e64 s[2:3], s47, v9
	v_cndmask_b32_e64 v9, v14, v13, s[2:3]
	v_add_co_u32_e64 v13, s[2:3], 2, v11
	v_subb_co_u32_e32 v8, vcc, v10, v8, vcc
	v_addc_co_u32_e64 v14, s[2:3], 0, v12, s[2:3]
	v_cmp_le_u32_e32 vcc, s47, v8
	v_add_co_u32_e64 v15, s[2:3], 1, v11
	v_cndmask_b32_e64 v10, 0, -1, vcc
	v_cmp_le_u32_e32 vcc, s46, v7
	v_addc_co_u32_e64 v16, s[2:3], 0, v12, s[2:3]
	v_cndmask_b32_e64 v7, 0, -1, vcc
	v_cmp_eq_u32_e32 vcc, s47, v8
	v_cmp_ne_u32_e64 s[2:3], 0, v9
	v_cndmask_b32_e32 v7, v10, v7, vcc
	v_cndmask_b32_e64 v9, v16, v14, s[2:3]
	v_cmp_ne_u32_e32 vcc, 0, v7
	v_cndmask_b32_e64 v7, v15, v13, s[2:3]
	v_cndmask_b32_e32 v8, v12, v9, vcc
	v_cndmask_b32_e32 v7, v11, v7, vcc
                                        ; implicit-def: $vgpr9
.LBB8_155:
	s_andn2_saveexec_b64 s[2:3], s[8:9]
	s_cbranch_execz .LBB8_157
; %bb.156:
	v_cvt_f32_u32_e32 v7, s46
	s_sub_i32 s8, 0, s46
	v_rcp_iflag_f32_e32 v7, v7
	v_mul_f32_e32 v7, 0x4f7ffffe, v7
	v_cvt_u32_f32_e32 v7, v7
	v_mul_lo_u32 v8, s8, v7
	v_mul_hi_u32 v8, v7, v8
	v_add_u32_e32 v7, v7, v8
	v_mul_hi_u32 v7, v9, v7
	v_mul_lo_u32 v8, v7, s46
	v_add_u32_e32 v10, 1, v7
	v_sub_u32_e32 v8, v9, v8
	v_subrev_u32_e32 v9, s46, v8
	v_cmp_le_u32_e32 vcc, s46, v8
	v_cndmask_b32_e32 v8, v8, v9, vcc
	v_cndmask_b32_e32 v7, v7, v10, vcc
	v_add_u32_e32 v9, 1, v7
	v_cmp_le_u32_e32 vcc, s46, v8
	v_cndmask_b32_e32 v7, v7, v9, vcc
	v_mov_b32_e32 v8, 0
.LBB8_157:
	s_or_b64 exec, exec, s[2:3]
	v_add_co_u32_e32 v11, vcc, 0x400, v28
	v_addc_co_u32_e32 v12, vcc, 0, v27, vcc
	v_or_b32_e32 v10, s47, v12
	v_mov_b32_e32 v9, 0
	v_cmp_ne_u64_e32 vcc, 0, v[9:10]
                                        ; implicit-def: $vgpr9_vgpr10
	s_and_saveexec_b64 s[2:3], vcc
	s_xor_b64 s[8:9], exec, s[2:3]
	s_cbranch_execz .LBB8_159
; %bb.158:
	v_cvt_f32_u32_e32 v9, s46
	v_cvt_f32_u32_e32 v10, s47
	s_sub_u32 s10, 0, s46
	s_subb_u32 s11, 0, s47
	v_madmk_f32 v9, v10, 0x4f800000, v9
	v_rcp_f32_e32 v9, v9
	v_mul_f32_e32 v9, 0x5f7ffffc, v9
	v_mul_f32_e32 v10, 0x2f800000, v9
	v_trunc_f32_e32 v10, v10
	v_madmk_f32 v9, v10, 0xcf800000, v9
	v_cvt_u32_f32_e32 v10, v10
	v_cvt_u32_f32_e32 v9, v9
	v_readfirstlane_b32 s12, v10
	v_readfirstlane_b32 s2, v9
	s_mul_i32 s3, s10, s12
	s_mul_hi_u32 s14, s10, s2
	s_mul_i32 s13, s11, s2
	s_add_i32 s3, s14, s3
	s_mul_i32 s15, s10, s2
	s_add_i32 s3, s3, s13
	s_mul_i32 s14, s2, s3
	s_mul_hi_u32 s16, s2, s15
	s_mul_hi_u32 s13, s2, s3
	s_add_u32 s14, s16, s14
	s_addc_u32 s13, 0, s13
	s_mul_hi_u32 s17, s12, s15
	s_mul_i32 s15, s12, s15
	s_add_u32 s14, s14, s15
	s_mul_hi_u32 s16, s12, s3
	s_addc_u32 s13, s13, s17
	s_addc_u32 s14, s16, 0
	s_mul_i32 s3, s12, s3
	s_add_u32 s3, s13, s3
	s_addc_u32 s13, 0, s14
	s_add_u32 s14, s2, s3
	s_cselect_b64 s[2:3], -1, 0
	s_cmp_lg_u64 s[2:3], 0
	s_addc_u32 s12, s12, s13
	s_mul_i32 s2, s10, s12
	s_mul_hi_u32 s3, s10, s14
	s_add_i32 s2, s3, s2
	s_mul_i32 s11, s11, s14
	s_add_i32 s2, s2, s11
	s_mul_i32 s10, s10, s14
	s_mul_hi_u32 s11, s12, s10
	s_mul_i32 s13, s12, s10
	s_mul_i32 s16, s14, s2
	s_mul_hi_u32 s10, s14, s10
	s_mul_hi_u32 s15, s14, s2
	s_add_u32 s10, s10, s16
	s_addc_u32 s15, 0, s15
	s_add_u32 s10, s10, s13
	s_mul_hi_u32 s3, s12, s2
	s_addc_u32 s10, s15, s11
	s_addc_u32 s3, s3, 0
	s_mul_i32 s2, s12, s2
	s_add_u32 s2, s10, s2
	s_addc_u32 s10, 0, s3
	s_add_u32 s11, s14, s2
	s_cselect_b64 s[2:3], -1, 0
	s_cmp_lg_u64 s[2:3], 0
	s_addc_u32 s10, s12, s10
	v_mad_u64_u32 v[9:10], s[2:3], v11, s10, 0
	v_mul_hi_u32 v13, v11, s11
	v_add_co_u32_e32 v15, vcc, v13, v9
	v_addc_co_u32_e32 v16, vcc, 0, v10, vcc
	v_mad_u64_u32 v[9:10], s[2:3], v12, s11, 0
	v_mad_u64_u32 v[13:14], s[2:3], v12, s10, 0
	v_add_co_u32_e32 v9, vcc, v15, v9
	v_addc_co_u32_e32 v9, vcc, v16, v10, vcc
	v_addc_co_u32_e32 v10, vcc, 0, v14, vcc
	v_add_co_u32_e32 v13, vcc, v9, v13
	v_addc_co_u32_e32 v14, vcc, 0, v10, vcc
	v_mul_lo_u32 v15, s47, v13
	v_mul_lo_u32 v16, s46, v14
	v_mad_u64_u32 v[9:10], s[2:3], s46, v13, 0
	v_add3_u32 v10, v10, v16, v15
	v_sub_u32_e32 v15, v12, v10
	v_mov_b32_e32 v16, s47
	v_sub_co_u32_e32 v9, vcc, v11, v9
	v_subb_co_u32_e64 v11, s[2:3], v15, v16, vcc
	v_subrev_co_u32_e64 v15, s[2:3], s46, v9
	v_subbrev_co_u32_e64 v11, s[2:3], 0, v11, s[2:3]
	v_cmp_le_u32_e64 s[2:3], s47, v11
	v_cndmask_b32_e64 v16, 0, -1, s[2:3]
	v_cmp_le_u32_e64 s[2:3], s46, v15
	v_cndmask_b32_e64 v15, 0, -1, s[2:3]
	v_cmp_eq_u32_e64 s[2:3], s47, v11
	v_cndmask_b32_e64 v11, v16, v15, s[2:3]
	v_add_co_u32_e64 v15, s[2:3], 2, v13
	v_subb_co_u32_e32 v10, vcc, v12, v10, vcc
	v_addc_co_u32_e64 v16, s[2:3], 0, v14, s[2:3]
	v_cmp_le_u32_e32 vcc, s47, v10
	v_add_co_u32_e64 v17, s[2:3], 1, v13
	v_cndmask_b32_e64 v12, 0, -1, vcc
	v_cmp_le_u32_e32 vcc, s46, v9
	v_addc_co_u32_e64 v18, s[2:3], 0, v14, s[2:3]
	v_cndmask_b32_e64 v9, 0, -1, vcc
	v_cmp_eq_u32_e32 vcc, s47, v10
	v_cmp_ne_u32_e64 s[2:3], 0, v11
	v_cndmask_b32_e32 v9, v12, v9, vcc
	v_cndmask_b32_e64 v11, v18, v16, s[2:3]
	v_cmp_ne_u32_e32 vcc, 0, v9
	v_cndmask_b32_e64 v9, v17, v15, s[2:3]
	v_cndmask_b32_e32 v10, v14, v11, vcc
	v_cndmask_b32_e32 v9, v13, v9, vcc
                                        ; implicit-def: $vgpr11
.LBB8_159:
	s_andn2_saveexec_b64 s[2:3], s[8:9]
	s_cbranch_execz .LBB8_161
; %bb.160:
	v_cvt_f32_u32_e32 v9, s46
	s_sub_i32 s8, 0, s46
	v_rcp_iflag_f32_e32 v9, v9
	v_mul_f32_e32 v9, 0x4f7ffffe, v9
	v_cvt_u32_f32_e32 v9, v9
	v_mul_lo_u32 v10, s8, v9
	v_mul_hi_u32 v10, v9, v10
	v_add_u32_e32 v9, v9, v10
	v_mul_hi_u32 v9, v11, v9
	v_mul_lo_u32 v10, v9, s46
	v_add_u32_e32 v12, 1, v9
	v_sub_u32_e32 v10, v11, v10
	v_subrev_u32_e32 v11, s46, v10
	v_cmp_le_u32_e32 vcc, s46, v10
	v_cndmask_b32_e32 v10, v10, v11, vcc
	v_cndmask_b32_e32 v9, v9, v12, vcc
	v_add_u32_e32 v11, 1, v9
	v_cmp_le_u32_e32 vcc, s46, v10
	v_cndmask_b32_e32 v9, v9, v11, vcc
	v_mov_b32_e32 v10, 0
.LBB8_161:
	s_or_b64 exec, exec, s[2:3]
	v_add_co_u32_e32 v13, vcc, 0x500, v28
	v_addc_co_u32_e32 v14, vcc, 0, v27, vcc
	v_or_b32_e32 v12, s47, v14
	v_mov_b32_e32 v11, 0
	v_cmp_ne_u64_e32 vcc, 0, v[11:12]
                                        ; implicit-def: $vgpr11_vgpr12
	s_and_saveexec_b64 s[2:3], vcc
	s_xor_b64 s[8:9], exec, s[2:3]
	s_cbranch_execz .LBB8_163
; %bb.162:
	v_cvt_f32_u32_e32 v11, s46
	v_cvt_f32_u32_e32 v12, s47
	s_sub_u32 s10, 0, s46
	s_subb_u32 s11, 0, s47
	v_madmk_f32 v11, v12, 0x4f800000, v11
	v_rcp_f32_e32 v11, v11
	v_mul_f32_e32 v11, 0x5f7ffffc, v11
	v_mul_f32_e32 v12, 0x2f800000, v11
	v_trunc_f32_e32 v12, v12
	v_madmk_f32 v11, v12, 0xcf800000, v11
	v_cvt_u32_f32_e32 v12, v12
	v_cvt_u32_f32_e32 v11, v11
	v_readfirstlane_b32 s12, v12
	v_readfirstlane_b32 s2, v11
	s_mul_i32 s3, s10, s12
	s_mul_hi_u32 s14, s10, s2
	s_mul_i32 s13, s11, s2
	s_add_i32 s3, s14, s3
	s_mul_i32 s15, s10, s2
	s_add_i32 s3, s3, s13
	s_mul_i32 s14, s2, s3
	s_mul_hi_u32 s16, s2, s15
	s_mul_hi_u32 s13, s2, s3
	s_add_u32 s14, s16, s14
	s_addc_u32 s13, 0, s13
	s_mul_hi_u32 s17, s12, s15
	s_mul_i32 s15, s12, s15
	s_add_u32 s14, s14, s15
	s_mul_hi_u32 s16, s12, s3
	s_addc_u32 s13, s13, s17
	s_addc_u32 s14, s16, 0
	s_mul_i32 s3, s12, s3
	s_add_u32 s3, s13, s3
	s_addc_u32 s13, 0, s14
	s_add_u32 s14, s2, s3
	s_cselect_b64 s[2:3], -1, 0
	s_cmp_lg_u64 s[2:3], 0
	s_addc_u32 s12, s12, s13
	s_mul_i32 s2, s10, s12
	s_mul_hi_u32 s3, s10, s14
	s_add_i32 s2, s3, s2
	s_mul_i32 s11, s11, s14
	s_add_i32 s2, s2, s11
	s_mul_i32 s10, s10, s14
	s_mul_hi_u32 s11, s12, s10
	s_mul_i32 s13, s12, s10
	s_mul_i32 s16, s14, s2
	s_mul_hi_u32 s10, s14, s10
	s_mul_hi_u32 s15, s14, s2
	s_add_u32 s10, s10, s16
	s_addc_u32 s15, 0, s15
	s_add_u32 s10, s10, s13
	s_mul_hi_u32 s3, s12, s2
	s_addc_u32 s10, s15, s11
	s_addc_u32 s3, s3, 0
	s_mul_i32 s2, s12, s2
	s_add_u32 s2, s10, s2
	s_addc_u32 s10, 0, s3
	s_add_u32 s11, s14, s2
	s_cselect_b64 s[2:3], -1, 0
	s_cmp_lg_u64 s[2:3], 0
	s_addc_u32 s10, s12, s10
	v_mad_u64_u32 v[11:12], s[2:3], v13, s10, 0
	v_mul_hi_u32 v15, v13, s11
	v_add_co_u32_e32 v17, vcc, v15, v11
	v_addc_co_u32_e32 v18, vcc, 0, v12, vcc
	v_mad_u64_u32 v[11:12], s[2:3], v14, s11, 0
	v_mad_u64_u32 v[15:16], s[2:3], v14, s10, 0
	v_add_co_u32_e32 v11, vcc, v17, v11
	v_addc_co_u32_e32 v11, vcc, v18, v12, vcc
	v_addc_co_u32_e32 v12, vcc, 0, v16, vcc
	v_add_co_u32_e32 v15, vcc, v11, v15
	v_addc_co_u32_e32 v16, vcc, 0, v12, vcc
	v_mul_lo_u32 v17, s47, v15
	v_mul_lo_u32 v18, s46, v16
	v_mad_u64_u32 v[11:12], s[2:3], s46, v15, 0
	v_add3_u32 v12, v12, v18, v17
	v_sub_u32_e32 v17, v14, v12
	v_mov_b32_e32 v18, s47
	v_sub_co_u32_e32 v11, vcc, v13, v11
	v_subb_co_u32_e64 v13, s[2:3], v17, v18, vcc
	v_subrev_co_u32_e64 v17, s[2:3], s46, v11
	v_subbrev_co_u32_e64 v13, s[2:3], 0, v13, s[2:3]
	v_cmp_le_u32_e64 s[2:3], s47, v13
	v_cndmask_b32_e64 v18, 0, -1, s[2:3]
	v_cmp_le_u32_e64 s[2:3], s46, v17
	v_cndmask_b32_e64 v17, 0, -1, s[2:3]
	v_cmp_eq_u32_e64 s[2:3], s47, v13
	v_cndmask_b32_e64 v13, v18, v17, s[2:3]
	v_add_co_u32_e64 v17, s[2:3], 2, v15
	v_subb_co_u32_e32 v12, vcc, v14, v12, vcc
	v_addc_co_u32_e64 v18, s[2:3], 0, v16, s[2:3]
	v_cmp_le_u32_e32 vcc, s47, v12
	v_add_co_u32_e64 v19, s[2:3], 1, v15
	v_cndmask_b32_e64 v14, 0, -1, vcc
	v_cmp_le_u32_e32 vcc, s46, v11
	v_addc_co_u32_e64 v20, s[2:3], 0, v16, s[2:3]
	v_cndmask_b32_e64 v11, 0, -1, vcc
	v_cmp_eq_u32_e32 vcc, s47, v12
	v_cmp_ne_u32_e64 s[2:3], 0, v13
	v_cndmask_b32_e32 v11, v14, v11, vcc
	v_cndmask_b32_e64 v13, v20, v18, s[2:3]
	v_cmp_ne_u32_e32 vcc, 0, v11
	v_cndmask_b32_e64 v11, v19, v17, s[2:3]
	v_cndmask_b32_e32 v12, v16, v13, vcc
	v_cndmask_b32_e32 v11, v15, v11, vcc
                                        ; implicit-def: $vgpr13
.LBB8_163:
	s_andn2_saveexec_b64 s[2:3], s[8:9]
	s_cbranch_execz .LBB8_165
; %bb.164:
	v_cvt_f32_u32_e32 v11, s46
	s_sub_i32 s8, 0, s46
	v_rcp_iflag_f32_e32 v11, v11
	v_mul_f32_e32 v11, 0x4f7ffffe, v11
	v_cvt_u32_f32_e32 v11, v11
	v_mul_lo_u32 v12, s8, v11
	v_mul_hi_u32 v12, v11, v12
	v_add_u32_e32 v11, v11, v12
	v_mul_hi_u32 v11, v13, v11
	v_mul_lo_u32 v12, v11, s46
	v_add_u32_e32 v14, 1, v11
	v_sub_u32_e32 v12, v13, v12
	v_subrev_u32_e32 v13, s46, v12
	v_cmp_le_u32_e32 vcc, s46, v12
	v_cndmask_b32_e32 v12, v12, v13, vcc
	v_cndmask_b32_e32 v11, v11, v14, vcc
	v_add_u32_e32 v13, 1, v11
	v_cmp_le_u32_e32 vcc, s46, v12
	v_cndmask_b32_e32 v11, v11, v13, vcc
	v_mov_b32_e32 v12, 0
.LBB8_165:
	s_or_b64 exec, exec, s[2:3]
	v_add_co_u32_e32 v15, vcc, 0x600, v28
	v_addc_co_u32_e32 v16, vcc, 0, v27, vcc
	v_or_b32_e32 v14, s47, v16
	v_mov_b32_e32 v13, 0
	v_cmp_ne_u64_e32 vcc, 0, v[13:14]
                                        ; implicit-def: $vgpr13_vgpr14
	s_and_saveexec_b64 s[2:3], vcc
	s_xor_b64 s[8:9], exec, s[2:3]
	s_cbranch_execz .LBB8_167
; %bb.166:
	v_cvt_f32_u32_e32 v13, s46
	v_cvt_f32_u32_e32 v14, s47
	s_sub_u32 s10, 0, s46
	s_subb_u32 s11, 0, s47
	v_madmk_f32 v13, v14, 0x4f800000, v13
	v_rcp_f32_e32 v13, v13
	v_mul_f32_e32 v13, 0x5f7ffffc, v13
	v_mul_f32_e32 v14, 0x2f800000, v13
	v_trunc_f32_e32 v14, v14
	v_madmk_f32 v13, v14, 0xcf800000, v13
	v_cvt_u32_f32_e32 v14, v14
	v_cvt_u32_f32_e32 v13, v13
	v_readfirstlane_b32 s12, v14
	v_readfirstlane_b32 s2, v13
	s_mul_i32 s3, s10, s12
	s_mul_hi_u32 s14, s10, s2
	s_mul_i32 s13, s11, s2
	s_add_i32 s3, s14, s3
	s_mul_i32 s15, s10, s2
	s_add_i32 s3, s3, s13
	s_mul_i32 s14, s2, s3
	s_mul_hi_u32 s16, s2, s15
	s_mul_hi_u32 s13, s2, s3
	s_add_u32 s14, s16, s14
	s_addc_u32 s13, 0, s13
	s_mul_hi_u32 s17, s12, s15
	s_mul_i32 s15, s12, s15
	s_add_u32 s14, s14, s15
	s_mul_hi_u32 s16, s12, s3
	s_addc_u32 s13, s13, s17
	s_addc_u32 s14, s16, 0
	s_mul_i32 s3, s12, s3
	s_add_u32 s3, s13, s3
	s_addc_u32 s13, 0, s14
	s_add_u32 s14, s2, s3
	s_cselect_b64 s[2:3], -1, 0
	s_cmp_lg_u64 s[2:3], 0
	s_addc_u32 s12, s12, s13
	s_mul_i32 s2, s10, s12
	s_mul_hi_u32 s3, s10, s14
	s_add_i32 s2, s3, s2
	s_mul_i32 s11, s11, s14
	s_add_i32 s2, s2, s11
	s_mul_i32 s10, s10, s14
	s_mul_hi_u32 s11, s12, s10
	s_mul_i32 s13, s12, s10
	s_mul_i32 s16, s14, s2
	s_mul_hi_u32 s10, s14, s10
	s_mul_hi_u32 s15, s14, s2
	s_add_u32 s10, s10, s16
	s_addc_u32 s15, 0, s15
	s_add_u32 s10, s10, s13
	s_mul_hi_u32 s3, s12, s2
	s_addc_u32 s10, s15, s11
	s_addc_u32 s3, s3, 0
	s_mul_i32 s2, s12, s2
	s_add_u32 s2, s10, s2
	s_addc_u32 s10, 0, s3
	s_add_u32 s11, s14, s2
	s_cselect_b64 s[2:3], -1, 0
	s_cmp_lg_u64 s[2:3], 0
	s_addc_u32 s10, s12, s10
	v_mad_u64_u32 v[13:14], s[2:3], v15, s10, 0
	v_mul_hi_u32 v17, v15, s11
	v_add_co_u32_e32 v19, vcc, v17, v13
	v_addc_co_u32_e32 v20, vcc, 0, v14, vcc
	v_mad_u64_u32 v[13:14], s[2:3], v16, s11, 0
	v_mad_u64_u32 v[17:18], s[2:3], v16, s10, 0
	v_add_co_u32_e32 v13, vcc, v19, v13
	v_addc_co_u32_e32 v13, vcc, v20, v14, vcc
	v_addc_co_u32_e32 v14, vcc, 0, v18, vcc
	v_add_co_u32_e32 v17, vcc, v13, v17
	v_addc_co_u32_e32 v18, vcc, 0, v14, vcc
	v_mul_lo_u32 v19, s47, v17
	v_mul_lo_u32 v20, s46, v18
	v_mad_u64_u32 v[13:14], s[2:3], s46, v17, 0
	v_add3_u32 v14, v14, v20, v19
	v_sub_u32_e32 v19, v16, v14
	v_mov_b32_e32 v20, s47
	v_sub_co_u32_e32 v13, vcc, v15, v13
	v_subb_co_u32_e64 v15, s[2:3], v19, v20, vcc
	v_subrev_co_u32_e64 v19, s[2:3], s46, v13
	v_subbrev_co_u32_e64 v15, s[2:3], 0, v15, s[2:3]
	v_cmp_le_u32_e64 s[2:3], s47, v15
	v_cndmask_b32_e64 v20, 0, -1, s[2:3]
	v_cmp_le_u32_e64 s[2:3], s46, v19
	v_cndmask_b32_e64 v19, 0, -1, s[2:3]
	v_cmp_eq_u32_e64 s[2:3], s47, v15
	v_cndmask_b32_e64 v15, v20, v19, s[2:3]
	v_add_co_u32_e64 v19, s[2:3], 2, v17
	v_subb_co_u32_e32 v14, vcc, v16, v14, vcc
	v_addc_co_u32_e64 v20, s[2:3], 0, v18, s[2:3]
	v_cmp_le_u32_e32 vcc, s47, v14
	v_add_co_u32_e64 v21, s[2:3], 1, v17
	v_cndmask_b32_e64 v16, 0, -1, vcc
	v_cmp_le_u32_e32 vcc, s46, v13
	v_addc_co_u32_e64 v22, s[2:3], 0, v18, s[2:3]
	v_cndmask_b32_e64 v13, 0, -1, vcc
	v_cmp_eq_u32_e32 vcc, s47, v14
	v_cmp_ne_u32_e64 s[2:3], 0, v15
	v_cndmask_b32_e32 v13, v16, v13, vcc
	v_cndmask_b32_e64 v15, v22, v20, s[2:3]
	v_cmp_ne_u32_e32 vcc, 0, v13
	v_cndmask_b32_e64 v13, v21, v19, s[2:3]
	v_cndmask_b32_e32 v14, v18, v15, vcc
	v_cndmask_b32_e32 v13, v17, v13, vcc
                                        ; implicit-def: $vgpr15
.LBB8_167:
	s_andn2_saveexec_b64 s[2:3], s[8:9]
	s_cbranch_execz .LBB8_169
; %bb.168:
	v_cvt_f32_u32_e32 v13, s46
	s_sub_i32 s8, 0, s46
	v_rcp_iflag_f32_e32 v13, v13
	v_mul_f32_e32 v13, 0x4f7ffffe, v13
	v_cvt_u32_f32_e32 v13, v13
	v_mul_lo_u32 v14, s8, v13
	v_mul_hi_u32 v14, v13, v14
	v_add_u32_e32 v13, v13, v14
	v_mul_hi_u32 v13, v15, v13
	v_mul_lo_u32 v14, v13, s46
	v_add_u32_e32 v16, 1, v13
	v_sub_u32_e32 v14, v15, v14
	v_subrev_u32_e32 v15, s46, v14
	v_cmp_le_u32_e32 vcc, s46, v14
	v_cndmask_b32_e32 v14, v14, v15, vcc
	v_cndmask_b32_e32 v13, v13, v16, vcc
	v_add_u32_e32 v15, 1, v13
	v_cmp_le_u32_e32 vcc, s46, v14
	v_cndmask_b32_e32 v13, v13, v15, vcc
	v_mov_b32_e32 v14, 0
.LBB8_169:
	s_or_b64 exec, exec, s[2:3]
	v_add_co_u32_e32 v17, vcc, 0x700, v28
	v_addc_co_u32_e32 v18, vcc, 0, v27, vcc
	v_or_b32_e32 v16, s47, v18
	v_mov_b32_e32 v15, 0
	v_cmp_ne_u64_e32 vcc, 0, v[15:16]
                                        ; implicit-def: $vgpr15_vgpr16
	s_and_saveexec_b64 s[2:3], vcc
	s_xor_b64 s[8:9], exec, s[2:3]
	s_cbranch_execz .LBB8_171
; %bb.170:
	v_cvt_f32_u32_e32 v15, s46
	v_cvt_f32_u32_e32 v16, s47
	s_sub_u32 s10, 0, s46
	s_subb_u32 s11, 0, s47
	v_madmk_f32 v15, v16, 0x4f800000, v15
	v_rcp_f32_e32 v15, v15
	v_mul_f32_e32 v15, 0x5f7ffffc, v15
	v_mul_f32_e32 v16, 0x2f800000, v15
	v_trunc_f32_e32 v16, v16
	v_madmk_f32 v15, v16, 0xcf800000, v15
	v_cvt_u32_f32_e32 v16, v16
	v_cvt_u32_f32_e32 v15, v15
	v_readfirstlane_b32 s12, v16
	v_readfirstlane_b32 s2, v15
	s_mul_i32 s3, s10, s12
	s_mul_hi_u32 s14, s10, s2
	s_mul_i32 s13, s11, s2
	s_add_i32 s3, s14, s3
	s_mul_i32 s15, s10, s2
	s_add_i32 s3, s3, s13
	s_mul_i32 s14, s2, s3
	s_mul_hi_u32 s16, s2, s15
	s_mul_hi_u32 s13, s2, s3
	s_add_u32 s14, s16, s14
	s_addc_u32 s13, 0, s13
	s_mul_hi_u32 s17, s12, s15
	s_mul_i32 s15, s12, s15
	s_add_u32 s14, s14, s15
	s_mul_hi_u32 s16, s12, s3
	s_addc_u32 s13, s13, s17
	s_addc_u32 s14, s16, 0
	s_mul_i32 s3, s12, s3
	s_add_u32 s3, s13, s3
	s_addc_u32 s13, 0, s14
	s_add_u32 s14, s2, s3
	s_cselect_b64 s[2:3], -1, 0
	s_cmp_lg_u64 s[2:3], 0
	s_addc_u32 s12, s12, s13
	s_mul_i32 s2, s10, s12
	s_mul_hi_u32 s3, s10, s14
	s_add_i32 s2, s3, s2
	s_mul_i32 s11, s11, s14
	s_add_i32 s2, s2, s11
	s_mul_i32 s10, s10, s14
	s_mul_hi_u32 s11, s12, s10
	s_mul_i32 s13, s12, s10
	s_mul_i32 s16, s14, s2
	s_mul_hi_u32 s10, s14, s10
	s_mul_hi_u32 s15, s14, s2
	s_add_u32 s10, s10, s16
	s_addc_u32 s15, 0, s15
	s_add_u32 s10, s10, s13
	s_mul_hi_u32 s3, s12, s2
	s_addc_u32 s10, s15, s11
	s_addc_u32 s3, s3, 0
	s_mul_i32 s2, s12, s2
	s_add_u32 s2, s10, s2
	s_addc_u32 s10, 0, s3
	s_add_u32 s11, s14, s2
	s_cselect_b64 s[2:3], -1, 0
	s_cmp_lg_u64 s[2:3], 0
	s_addc_u32 s10, s12, s10
	v_mad_u64_u32 v[15:16], s[2:3], v17, s10, 0
	v_mul_hi_u32 v19, v17, s11
	v_add_co_u32_e32 v21, vcc, v19, v15
	v_addc_co_u32_e32 v22, vcc, 0, v16, vcc
	v_mad_u64_u32 v[15:16], s[2:3], v18, s11, 0
	v_mad_u64_u32 v[19:20], s[2:3], v18, s10, 0
	v_add_co_u32_e32 v15, vcc, v21, v15
	v_addc_co_u32_e32 v15, vcc, v22, v16, vcc
	v_addc_co_u32_e32 v16, vcc, 0, v20, vcc
	v_add_co_u32_e32 v19, vcc, v15, v19
	v_addc_co_u32_e32 v20, vcc, 0, v16, vcc
	v_mul_lo_u32 v21, s47, v19
	v_mul_lo_u32 v22, s46, v20
	v_mad_u64_u32 v[15:16], s[2:3], s46, v19, 0
	v_add3_u32 v16, v16, v22, v21
	v_sub_u32_e32 v21, v18, v16
	v_mov_b32_e32 v22, s47
	v_sub_co_u32_e32 v15, vcc, v17, v15
	v_subb_co_u32_e64 v17, s[2:3], v21, v22, vcc
	v_subrev_co_u32_e64 v21, s[2:3], s46, v15
	v_subbrev_co_u32_e64 v17, s[2:3], 0, v17, s[2:3]
	v_cmp_le_u32_e64 s[2:3], s47, v17
	v_cndmask_b32_e64 v22, 0, -1, s[2:3]
	v_cmp_le_u32_e64 s[2:3], s46, v21
	v_cndmask_b32_e64 v21, 0, -1, s[2:3]
	v_cmp_eq_u32_e64 s[2:3], s47, v17
	v_cndmask_b32_e64 v17, v22, v21, s[2:3]
	v_add_co_u32_e64 v21, s[2:3], 2, v19
	v_subb_co_u32_e32 v16, vcc, v18, v16, vcc
	v_addc_co_u32_e64 v22, s[2:3], 0, v20, s[2:3]
	v_cmp_le_u32_e32 vcc, s47, v16
	v_add_co_u32_e64 v23, s[2:3], 1, v19
	v_cndmask_b32_e64 v18, 0, -1, vcc
	v_cmp_le_u32_e32 vcc, s46, v15
	v_addc_co_u32_e64 v24, s[2:3], 0, v20, s[2:3]
	v_cndmask_b32_e64 v15, 0, -1, vcc
	v_cmp_eq_u32_e32 vcc, s47, v16
	v_cmp_ne_u32_e64 s[2:3], 0, v17
	v_cndmask_b32_e32 v15, v18, v15, vcc
	v_cndmask_b32_e64 v17, v24, v22, s[2:3]
	v_cmp_ne_u32_e32 vcc, 0, v15
	v_cndmask_b32_e64 v15, v23, v21, s[2:3]
	v_cndmask_b32_e32 v16, v20, v17, vcc
	v_cndmask_b32_e32 v15, v19, v15, vcc
                                        ; implicit-def: $vgpr17
.LBB8_171:
	s_andn2_saveexec_b64 s[2:3], s[8:9]
	s_cbranch_execz .LBB8_173
; %bb.172:
	v_cvt_f32_u32_e32 v15, s46
	s_sub_i32 s8, 0, s46
	v_rcp_iflag_f32_e32 v15, v15
	v_mul_f32_e32 v15, 0x4f7ffffe, v15
	v_cvt_u32_f32_e32 v15, v15
	v_mul_lo_u32 v16, s8, v15
	v_mul_hi_u32 v16, v15, v16
	v_add_u32_e32 v15, v15, v16
	v_mul_hi_u32 v15, v17, v15
	v_mul_lo_u32 v16, v15, s46
	v_add_u32_e32 v18, 1, v15
	v_sub_u32_e32 v16, v17, v16
	v_subrev_u32_e32 v17, s46, v16
	v_cmp_le_u32_e32 vcc, s46, v16
	v_cndmask_b32_e32 v16, v16, v17, vcc
	v_cndmask_b32_e32 v15, v15, v18, vcc
	v_add_u32_e32 v17, 1, v15
	v_cmp_le_u32_e32 vcc, s46, v16
	v_cndmask_b32_e32 v15, v15, v17, vcc
	v_mov_b32_e32 v16, 0
.LBB8_173:
	s_or_b64 exec, exec, s[2:3]
	v_add_co_u32_e32 v19, vcc, 0x800, v28
	v_addc_co_u32_e32 v20, vcc, 0, v27, vcc
	v_or_b32_e32 v18, s47, v20
	v_mov_b32_e32 v17, 0
	v_cmp_ne_u64_e32 vcc, 0, v[17:18]
                                        ; implicit-def: $vgpr17_vgpr18
	s_and_saveexec_b64 s[2:3], vcc
	s_xor_b64 s[8:9], exec, s[2:3]
	s_cbranch_execz .LBB8_175
; %bb.174:
	v_cvt_f32_u32_e32 v17, s46
	v_cvt_f32_u32_e32 v18, s47
	s_sub_u32 s10, 0, s46
	s_subb_u32 s11, 0, s47
	v_madmk_f32 v17, v18, 0x4f800000, v17
	v_rcp_f32_e32 v17, v17
	v_mul_f32_e32 v17, 0x5f7ffffc, v17
	v_mul_f32_e32 v18, 0x2f800000, v17
	v_trunc_f32_e32 v18, v18
	v_madmk_f32 v17, v18, 0xcf800000, v17
	v_cvt_u32_f32_e32 v18, v18
	v_cvt_u32_f32_e32 v17, v17
	v_readfirstlane_b32 s12, v18
	v_readfirstlane_b32 s2, v17
	s_mul_i32 s3, s10, s12
	s_mul_hi_u32 s14, s10, s2
	s_mul_i32 s13, s11, s2
	s_add_i32 s3, s14, s3
	s_mul_i32 s15, s10, s2
	s_add_i32 s3, s3, s13
	s_mul_i32 s14, s2, s3
	s_mul_hi_u32 s16, s2, s15
	s_mul_hi_u32 s13, s2, s3
	s_add_u32 s14, s16, s14
	s_addc_u32 s13, 0, s13
	s_mul_hi_u32 s17, s12, s15
	s_mul_i32 s15, s12, s15
	s_add_u32 s14, s14, s15
	s_mul_hi_u32 s16, s12, s3
	s_addc_u32 s13, s13, s17
	s_addc_u32 s14, s16, 0
	s_mul_i32 s3, s12, s3
	s_add_u32 s3, s13, s3
	s_addc_u32 s13, 0, s14
	s_add_u32 s14, s2, s3
	s_cselect_b64 s[2:3], -1, 0
	s_cmp_lg_u64 s[2:3], 0
	s_addc_u32 s12, s12, s13
	s_mul_i32 s2, s10, s12
	s_mul_hi_u32 s3, s10, s14
	s_add_i32 s2, s3, s2
	s_mul_i32 s11, s11, s14
	s_add_i32 s2, s2, s11
	s_mul_i32 s10, s10, s14
	s_mul_hi_u32 s11, s12, s10
	s_mul_i32 s13, s12, s10
	s_mul_i32 s16, s14, s2
	s_mul_hi_u32 s10, s14, s10
	s_mul_hi_u32 s15, s14, s2
	s_add_u32 s10, s10, s16
	s_addc_u32 s15, 0, s15
	s_add_u32 s10, s10, s13
	s_mul_hi_u32 s3, s12, s2
	s_addc_u32 s10, s15, s11
	s_addc_u32 s3, s3, 0
	s_mul_i32 s2, s12, s2
	s_add_u32 s2, s10, s2
	s_addc_u32 s10, 0, s3
	s_add_u32 s11, s14, s2
	s_cselect_b64 s[2:3], -1, 0
	s_cmp_lg_u64 s[2:3], 0
	s_addc_u32 s10, s12, s10
	v_mad_u64_u32 v[17:18], s[2:3], v19, s10, 0
	v_mul_hi_u32 v21, v19, s11
	v_add_co_u32_e32 v23, vcc, v21, v17
	v_addc_co_u32_e32 v24, vcc, 0, v18, vcc
	v_mad_u64_u32 v[17:18], s[2:3], v20, s11, 0
	v_mad_u64_u32 v[21:22], s[2:3], v20, s10, 0
	v_add_co_u32_e32 v17, vcc, v23, v17
	v_addc_co_u32_e32 v17, vcc, v24, v18, vcc
	v_addc_co_u32_e32 v18, vcc, 0, v22, vcc
	v_add_co_u32_e32 v21, vcc, v17, v21
	v_addc_co_u32_e32 v22, vcc, 0, v18, vcc
	v_mul_lo_u32 v23, s47, v21
	v_mul_lo_u32 v24, s46, v22
	v_mad_u64_u32 v[17:18], s[2:3], s46, v21, 0
	v_add3_u32 v18, v18, v24, v23
	v_sub_u32_e32 v23, v20, v18
	v_mov_b32_e32 v24, s47
	v_sub_co_u32_e32 v17, vcc, v19, v17
	v_subb_co_u32_e64 v19, s[2:3], v23, v24, vcc
	v_subrev_co_u32_e64 v23, s[2:3], s46, v17
	v_subbrev_co_u32_e64 v19, s[2:3], 0, v19, s[2:3]
	v_cmp_le_u32_e64 s[2:3], s47, v19
	v_cndmask_b32_e64 v24, 0, -1, s[2:3]
	v_cmp_le_u32_e64 s[2:3], s46, v23
	v_cndmask_b32_e64 v23, 0, -1, s[2:3]
	v_cmp_eq_u32_e64 s[2:3], s47, v19
	v_cndmask_b32_e64 v19, v24, v23, s[2:3]
	v_add_co_u32_e64 v23, s[2:3], 2, v21
	v_subb_co_u32_e32 v18, vcc, v20, v18, vcc
	v_addc_co_u32_e64 v24, s[2:3], 0, v22, s[2:3]
	v_cmp_le_u32_e32 vcc, s47, v18
	v_add_co_u32_e64 v25, s[2:3], 1, v21
	v_cndmask_b32_e64 v20, 0, -1, vcc
	v_cmp_le_u32_e32 vcc, s46, v17
	v_addc_co_u32_e64 v26, s[2:3], 0, v22, s[2:3]
	v_cndmask_b32_e64 v17, 0, -1, vcc
	v_cmp_eq_u32_e32 vcc, s47, v18
	v_cmp_ne_u32_e64 s[2:3], 0, v19
	v_cndmask_b32_e32 v17, v20, v17, vcc
	v_cndmask_b32_e64 v19, v26, v24, s[2:3]
	v_cmp_ne_u32_e32 vcc, 0, v17
	v_cndmask_b32_e64 v17, v25, v23, s[2:3]
	v_cndmask_b32_e32 v18, v22, v19, vcc
	v_cndmask_b32_e32 v17, v21, v17, vcc
                                        ; implicit-def: $vgpr19
.LBB8_175:
	s_andn2_saveexec_b64 s[2:3], s[8:9]
	s_cbranch_execz .LBB8_177
; %bb.176:
	v_cvt_f32_u32_e32 v17, s46
	s_sub_i32 s8, 0, s46
	v_rcp_iflag_f32_e32 v17, v17
	v_mul_f32_e32 v17, 0x4f7ffffe, v17
	v_cvt_u32_f32_e32 v17, v17
	v_mul_lo_u32 v18, s8, v17
	v_mul_hi_u32 v18, v17, v18
	v_add_u32_e32 v17, v17, v18
	v_mul_hi_u32 v17, v19, v17
	v_mul_lo_u32 v18, v17, s46
	v_add_u32_e32 v20, 1, v17
	v_sub_u32_e32 v18, v19, v18
	v_subrev_u32_e32 v19, s46, v18
	v_cmp_le_u32_e32 vcc, s46, v18
	v_cndmask_b32_e32 v18, v18, v19, vcc
	v_cndmask_b32_e32 v17, v17, v20, vcc
	v_add_u32_e32 v19, 1, v17
	v_cmp_le_u32_e32 vcc, s46, v18
	v_cndmask_b32_e32 v17, v17, v19, vcc
	v_mov_b32_e32 v18, 0
.LBB8_177:
	s_or_b64 exec, exec, s[2:3]
	v_add_co_u32_e32 v21, vcc, 0x900, v28
	v_addc_co_u32_e32 v22, vcc, 0, v27, vcc
	v_or_b32_e32 v20, s47, v22
	v_mov_b32_e32 v19, 0
	v_cmp_ne_u64_e32 vcc, 0, v[19:20]
                                        ; implicit-def: $vgpr19_vgpr20
	s_and_saveexec_b64 s[2:3], vcc
	s_xor_b64 s[8:9], exec, s[2:3]
	s_cbranch_execz .LBB8_179
; %bb.178:
	v_cvt_f32_u32_e32 v19, s46
	v_cvt_f32_u32_e32 v20, s47
	s_sub_u32 s10, 0, s46
	s_subb_u32 s11, 0, s47
	v_madmk_f32 v19, v20, 0x4f800000, v19
	v_rcp_f32_e32 v19, v19
	v_mul_f32_e32 v19, 0x5f7ffffc, v19
	v_mul_f32_e32 v20, 0x2f800000, v19
	v_trunc_f32_e32 v20, v20
	v_madmk_f32 v19, v20, 0xcf800000, v19
	v_cvt_u32_f32_e32 v20, v20
	v_cvt_u32_f32_e32 v19, v19
	v_readfirstlane_b32 s12, v20
	v_readfirstlane_b32 s2, v19
	s_mul_i32 s3, s10, s12
	s_mul_hi_u32 s14, s10, s2
	s_mul_i32 s13, s11, s2
	s_add_i32 s3, s14, s3
	s_mul_i32 s15, s10, s2
	s_add_i32 s3, s3, s13
	s_mul_i32 s14, s2, s3
	s_mul_hi_u32 s16, s2, s15
	s_mul_hi_u32 s13, s2, s3
	s_add_u32 s14, s16, s14
	s_addc_u32 s13, 0, s13
	s_mul_hi_u32 s17, s12, s15
	s_mul_i32 s15, s12, s15
	s_add_u32 s14, s14, s15
	s_mul_hi_u32 s16, s12, s3
	s_addc_u32 s13, s13, s17
	s_addc_u32 s14, s16, 0
	s_mul_i32 s3, s12, s3
	s_add_u32 s3, s13, s3
	s_addc_u32 s13, 0, s14
	s_add_u32 s14, s2, s3
	s_cselect_b64 s[2:3], -1, 0
	s_cmp_lg_u64 s[2:3], 0
	s_addc_u32 s12, s12, s13
	s_mul_i32 s2, s10, s12
	s_mul_hi_u32 s3, s10, s14
	s_add_i32 s2, s3, s2
	s_mul_i32 s11, s11, s14
	s_add_i32 s2, s2, s11
	s_mul_i32 s10, s10, s14
	s_mul_hi_u32 s11, s12, s10
	s_mul_i32 s13, s12, s10
	s_mul_i32 s16, s14, s2
	s_mul_hi_u32 s10, s14, s10
	s_mul_hi_u32 s15, s14, s2
	s_add_u32 s10, s10, s16
	s_addc_u32 s15, 0, s15
	s_add_u32 s10, s10, s13
	s_mul_hi_u32 s3, s12, s2
	s_addc_u32 s10, s15, s11
	s_addc_u32 s3, s3, 0
	s_mul_i32 s2, s12, s2
	s_add_u32 s2, s10, s2
	s_addc_u32 s10, 0, s3
	s_add_u32 s11, s14, s2
	s_cselect_b64 s[2:3], -1, 0
	s_cmp_lg_u64 s[2:3], 0
	s_addc_u32 s10, s12, s10
	v_mad_u64_u32 v[19:20], s[2:3], v21, s10, 0
	v_mul_hi_u32 v23, v21, s11
	v_add_co_u32_e32 v25, vcc, v23, v19
	v_addc_co_u32_e32 v26, vcc, 0, v20, vcc
	v_mad_u64_u32 v[19:20], s[2:3], v22, s11, 0
	v_mad_u64_u32 v[23:24], s[2:3], v22, s10, 0
	v_add_co_u32_e32 v19, vcc, v25, v19
	v_addc_co_u32_e32 v19, vcc, v26, v20, vcc
	v_addc_co_u32_e32 v20, vcc, 0, v24, vcc
	v_add_co_u32_e32 v23, vcc, v19, v23
	v_addc_co_u32_e32 v24, vcc, 0, v20, vcc
	v_mul_lo_u32 v25, s47, v23
	v_mul_lo_u32 v26, s46, v24
	v_mad_u64_u32 v[19:20], s[2:3], s46, v23, 0
	v_add3_u32 v20, v20, v26, v25
	v_sub_u32_e32 v25, v22, v20
	v_mov_b32_e32 v26, s47
	v_sub_co_u32_e32 v19, vcc, v21, v19
	v_subb_co_u32_e64 v21, s[2:3], v25, v26, vcc
	v_subrev_co_u32_e64 v25, s[2:3], s46, v19
	v_subbrev_co_u32_e64 v21, s[2:3], 0, v21, s[2:3]
	v_cmp_le_u32_e64 s[2:3], s47, v21
	v_cndmask_b32_e64 v26, 0, -1, s[2:3]
	v_cmp_le_u32_e64 s[2:3], s46, v25
	v_cndmask_b32_e64 v25, 0, -1, s[2:3]
	v_cmp_eq_u32_e64 s[2:3], s47, v21
	v_cndmask_b32_e64 v21, v26, v25, s[2:3]
	v_add_co_u32_e64 v25, s[2:3], 2, v23
	v_subb_co_u32_e32 v20, vcc, v22, v20, vcc
	v_addc_co_u32_e64 v26, s[2:3], 0, v24, s[2:3]
	v_cmp_le_u32_e32 vcc, s47, v20
	s_waitcnt lgkmcnt(0)
	v_add_co_u32_e64 v29, s[2:3], 1, v23
	v_cndmask_b32_e64 v22, 0, -1, vcc
	v_cmp_le_u32_e32 vcc, s46, v19
	v_addc_co_u32_e64 v30, s[2:3], 0, v24, s[2:3]
	v_cndmask_b32_e64 v19, 0, -1, vcc
	v_cmp_eq_u32_e32 vcc, s47, v20
	v_cmp_ne_u32_e64 s[2:3], 0, v21
	v_cndmask_b32_e32 v19, v22, v19, vcc
	v_cndmask_b32_e64 v21, v30, v26, s[2:3]
	v_cmp_ne_u32_e32 vcc, 0, v19
	v_cndmask_b32_e64 v19, v29, v25, s[2:3]
	v_cndmask_b32_e32 v20, v24, v21, vcc
	v_cndmask_b32_e32 v19, v23, v19, vcc
                                        ; implicit-def: $vgpr21
.LBB8_179:
	s_andn2_saveexec_b64 s[2:3], s[8:9]
	s_cbranch_execz .LBB8_181
; %bb.180:
	v_cvt_f32_u32_e32 v19, s46
	s_sub_i32 s8, 0, s46
	v_rcp_iflag_f32_e32 v19, v19
	v_mul_f32_e32 v19, 0x4f7ffffe, v19
	v_cvt_u32_f32_e32 v19, v19
	v_mul_lo_u32 v20, s8, v19
	v_mul_hi_u32 v20, v19, v20
	v_add_u32_e32 v19, v19, v20
	v_mul_hi_u32 v19, v21, v19
	v_mul_lo_u32 v20, v19, s46
	v_add_u32_e32 v22, 1, v19
	v_sub_u32_e32 v20, v21, v20
	v_subrev_u32_e32 v21, s46, v20
	v_cmp_le_u32_e32 vcc, s46, v20
	v_cndmask_b32_e32 v20, v20, v21, vcc
	v_cndmask_b32_e32 v19, v19, v22, vcc
	v_add_u32_e32 v21, 1, v19
	v_cmp_le_u32_e32 vcc, s46, v20
	v_cndmask_b32_e32 v19, v19, v21, vcc
	v_mov_b32_e32 v20, 0
.LBB8_181:
	s_or_b64 exec, exec, s[2:3]
	v_add_co_u32_e32 v23, vcc, 0xa00, v28
	v_addc_co_u32_e32 v24, vcc, 0, v27, vcc
	v_or_b32_e32 v22, s47, v24
	v_mov_b32_e32 v21, 0
	v_cmp_ne_u64_e32 vcc, 0, v[21:22]
                                        ; implicit-def: $vgpr21_vgpr22
	s_and_saveexec_b64 s[2:3], vcc
	s_xor_b64 s[8:9], exec, s[2:3]
	s_cbranch_execz .LBB8_183
; %bb.182:
	v_cvt_f32_u32_e32 v21, s46
	v_cvt_f32_u32_e32 v22, s47
	s_sub_u32 s10, 0, s46
	s_subb_u32 s11, 0, s47
	v_madmk_f32 v21, v22, 0x4f800000, v21
	v_rcp_f32_e32 v21, v21
	v_mul_f32_e32 v21, 0x5f7ffffc, v21
	v_mul_f32_e32 v22, 0x2f800000, v21
	v_trunc_f32_e32 v22, v22
	v_madmk_f32 v21, v22, 0xcf800000, v21
	v_cvt_u32_f32_e32 v22, v22
	v_cvt_u32_f32_e32 v21, v21
	v_readfirstlane_b32 s12, v22
	v_readfirstlane_b32 s2, v21
	s_mul_i32 s3, s10, s12
	s_mul_hi_u32 s14, s10, s2
	s_mul_i32 s13, s11, s2
	s_add_i32 s3, s14, s3
	s_mul_i32 s15, s10, s2
	s_add_i32 s3, s3, s13
	s_mul_i32 s14, s2, s3
	s_mul_hi_u32 s16, s2, s15
	s_mul_hi_u32 s13, s2, s3
	s_add_u32 s14, s16, s14
	s_addc_u32 s13, 0, s13
	s_mul_hi_u32 s17, s12, s15
	s_mul_i32 s15, s12, s15
	s_add_u32 s14, s14, s15
	s_mul_hi_u32 s16, s12, s3
	s_addc_u32 s13, s13, s17
	s_addc_u32 s14, s16, 0
	s_mul_i32 s3, s12, s3
	s_add_u32 s3, s13, s3
	s_addc_u32 s13, 0, s14
	s_add_u32 s14, s2, s3
	s_cselect_b64 s[2:3], -1, 0
	s_cmp_lg_u64 s[2:3], 0
	s_addc_u32 s12, s12, s13
	s_mul_i32 s2, s10, s12
	s_mul_hi_u32 s3, s10, s14
	s_add_i32 s2, s3, s2
	s_mul_i32 s11, s11, s14
	s_add_i32 s2, s2, s11
	s_mul_i32 s10, s10, s14
	s_mul_hi_u32 s11, s12, s10
	s_mul_i32 s13, s12, s10
	s_mul_i32 s16, s14, s2
	s_mul_hi_u32 s10, s14, s10
	s_mul_hi_u32 s15, s14, s2
	s_add_u32 s10, s10, s16
	s_addc_u32 s15, 0, s15
	s_add_u32 s10, s10, s13
	s_mul_hi_u32 s3, s12, s2
	s_addc_u32 s10, s15, s11
	s_addc_u32 s3, s3, 0
	s_mul_i32 s2, s12, s2
	s_add_u32 s2, s10, s2
	s_addc_u32 s10, 0, s3
	s_add_u32 s11, s14, s2
	s_cselect_b64 s[2:3], -1, 0
	s_cmp_lg_u64 s[2:3], 0
	s_addc_u32 s10, s12, s10
	v_mad_u64_u32 v[21:22], s[2:3], v23, s10, 0
	v_mul_hi_u32 v25, v23, s11
	s_waitcnt lgkmcnt(0)
	v_add_co_u32_e32 v29, vcc, v25, v21
	v_addc_co_u32_e32 v30, vcc, 0, v22, vcc
	v_mad_u64_u32 v[21:22], s[2:3], v24, s11, 0
	v_mad_u64_u32 v[25:26], s[2:3], v24, s10, 0
	v_add_co_u32_e32 v21, vcc, v29, v21
	v_addc_co_u32_e32 v21, vcc, v30, v22, vcc
	v_addc_co_u32_e32 v22, vcc, 0, v26, vcc
	v_add_co_u32_e32 v25, vcc, v21, v25
	v_addc_co_u32_e32 v26, vcc, 0, v22, vcc
	v_mul_lo_u32 v29, s47, v25
	v_mul_lo_u32 v30, s46, v26
	v_mad_u64_u32 v[21:22], s[2:3], s46, v25, 0
	v_add3_u32 v22, v22, v30, v29
	v_sub_u32_e32 v29, v24, v22
	v_mov_b32_e32 v30, s47
	v_sub_co_u32_e32 v21, vcc, v23, v21
	v_subb_co_u32_e64 v23, s[2:3], v29, v30, vcc
	v_subrev_co_u32_e64 v29, s[2:3], s46, v21
	v_subbrev_co_u32_e64 v23, s[2:3], 0, v23, s[2:3]
	v_cmp_le_u32_e64 s[2:3], s47, v23
	v_cndmask_b32_e64 v30, 0, -1, s[2:3]
	v_cmp_le_u32_e64 s[2:3], s46, v29
	v_cndmask_b32_e64 v29, 0, -1, s[2:3]
	v_cmp_eq_u32_e64 s[2:3], s47, v23
	v_cndmask_b32_e64 v23, v30, v29, s[2:3]
	v_add_co_u32_e64 v29, s[2:3], 2, v25
	v_subb_co_u32_e32 v22, vcc, v24, v22, vcc
	v_addc_co_u32_e64 v30, s[2:3], 0, v26, s[2:3]
	v_cmp_le_u32_e32 vcc, s47, v22
	v_add_co_u32_e64 v31, s[2:3], 1, v25
	v_cndmask_b32_e64 v24, 0, -1, vcc
	v_cmp_le_u32_e32 vcc, s46, v21
	v_addc_co_u32_e64 v32, s[2:3], 0, v26, s[2:3]
	v_cndmask_b32_e64 v21, 0, -1, vcc
	v_cmp_eq_u32_e32 vcc, s47, v22
	v_cmp_ne_u32_e64 s[2:3], 0, v23
	v_cndmask_b32_e32 v21, v24, v21, vcc
	v_cndmask_b32_e64 v23, v32, v30, s[2:3]
	v_cmp_ne_u32_e32 vcc, 0, v21
	v_cndmask_b32_e64 v21, v31, v29, s[2:3]
	v_cndmask_b32_e32 v22, v26, v23, vcc
	v_cndmask_b32_e32 v21, v25, v21, vcc
                                        ; implicit-def: $vgpr23
.LBB8_183:
	s_andn2_saveexec_b64 s[2:3], s[8:9]
	s_cbranch_execz .LBB8_185
; %bb.184:
	v_cvt_f32_u32_e32 v21, s46
	s_sub_i32 s8, 0, s46
	v_rcp_iflag_f32_e32 v21, v21
	v_mul_f32_e32 v21, 0x4f7ffffe, v21
	v_cvt_u32_f32_e32 v21, v21
	v_mul_lo_u32 v22, s8, v21
	v_mul_hi_u32 v22, v21, v22
	v_add_u32_e32 v21, v21, v22
	v_mul_hi_u32 v21, v23, v21
	v_mul_lo_u32 v22, v21, s46
	v_add_u32_e32 v24, 1, v21
	v_sub_u32_e32 v22, v23, v22
	v_subrev_u32_e32 v23, s46, v22
	v_cmp_le_u32_e32 vcc, s46, v22
	v_cndmask_b32_e32 v22, v22, v23, vcc
	v_cndmask_b32_e32 v21, v21, v24, vcc
	v_add_u32_e32 v23, 1, v21
	v_cmp_le_u32_e32 vcc, s46, v22
	v_cndmask_b32_e32 v21, v21, v23, vcc
	v_mov_b32_e32 v22, 0
.LBB8_185:
	s_or_b64 exec, exec, s[2:3]
	v_add_co_u32_e32 v25, vcc, 0xb00, v28
	v_addc_co_u32_e32 v26, vcc, 0, v27, vcc
	v_or_b32_e32 v24, s47, v26
	v_mov_b32_e32 v23, 0
	v_cmp_ne_u64_e32 vcc, 0, v[23:24]
                                        ; implicit-def: $vgpr23_vgpr24
	s_and_saveexec_b64 s[2:3], vcc
	s_xor_b64 s[8:9], exec, s[2:3]
	s_cbranch_execz .LBB8_187
; %bb.186:
	v_cvt_f32_u32_e32 v23, s46
	v_cvt_f32_u32_e32 v24, s47
	s_sub_u32 s10, 0, s46
	s_subb_u32 s11, 0, s47
	v_madmk_f32 v23, v24, 0x4f800000, v23
	v_rcp_f32_e32 v23, v23
	v_mul_f32_e32 v23, 0x5f7ffffc, v23
	v_mul_f32_e32 v24, 0x2f800000, v23
	v_trunc_f32_e32 v24, v24
	v_madmk_f32 v23, v24, 0xcf800000, v23
	v_cvt_u32_f32_e32 v24, v24
	v_cvt_u32_f32_e32 v23, v23
	v_readfirstlane_b32 s12, v24
	v_readfirstlane_b32 s2, v23
	s_mul_i32 s3, s10, s12
	s_mul_hi_u32 s14, s10, s2
	s_mul_i32 s13, s11, s2
	s_add_i32 s3, s14, s3
	s_mul_i32 s15, s10, s2
	s_add_i32 s3, s3, s13
	s_mul_i32 s14, s2, s3
	s_mul_hi_u32 s16, s2, s15
	s_mul_hi_u32 s13, s2, s3
	s_add_u32 s14, s16, s14
	s_addc_u32 s13, 0, s13
	s_mul_hi_u32 s17, s12, s15
	s_mul_i32 s15, s12, s15
	s_add_u32 s14, s14, s15
	s_mul_hi_u32 s16, s12, s3
	s_addc_u32 s13, s13, s17
	s_addc_u32 s14, s16, 0
	s_mul_i32 s3, s12, s3
	s_add_u32 s3, s13, s3
	s_addc_u32 s13, 0, s14
	s_add_u32 s14, s2, s3
	s_cselect_b64 s[2:3], -1, 0
	s_cmp_lg_u64 s[2:3], 0
	s_addc_u32 s12, s12, s13
	s_mul_i32 s2, s10, s12
	s_mul_hi_u32 s3, s10, s14
	s_add_i32 s2, s3, s2
	s_mul_i32 s11, s11, s14
	s_add_i32 s2, s2, s11
	s_mul_i32 s10, s10, s14
	s_mul_hi_u32 s11, s12, s10
	s_mul_i32 s13, s12, s10
	s_mul_i32 s16, s14, s2
	s_mul_hi_u32 s10, s14, s10
	s_mul_hi_u32 s15, s14, s2
	s_add_u32 s10, s10, s16
	s_addc_u32 s15, 0, s15
	s_add_u32 s10, s10, s13
	s_mul_hi_u32 s3, s12, s2
	s_addc_u32 s10, s15, s11
	s_addc_u32 s3, s3, 0
	s_mul_i32 s2, s12, s2
	s_add_u32 s2, s10, s2
	s_addc_u32 s10, 0, s3
	s_add_u32 s11, s14, s2
	s_cselect_b64 s[2:3], -1, 0
	s_cmp_lg_u64 s[2:3], 0
	s_addc_u32 s10, s12, s10
	v_mad_u64_u32 v[23:24], s[2:3], v25, s10, 0
	s_waitcnt lgkmcnt(0)
	v_mul_hi_u32 v29, v25, s11
	v_add_co_u32_e32 v31, vcc, v29, v23
	v_addc_co_u32_e32 v32, vcc, 0, v24, vcc
	v_mad_u64_u32 v[23:24], s[2:3], v26, s11, 0
	v_mad_u64_u32 v[29:30], s[2:3], v26, s10, 0
	v_add_co_u32_e32 v23, vcc, v31, v23
	v_addc_co_u32_e32 v23, vcc, v32, v24, vcc
	v_addc_co_u32_e32 v24, vcc, 0, v30, vcc
	v_add_co_u32_e32 v29, vcc, v23, v29
	v_addc_co_u32_e32 v30, vcc, 0, v24, vcc
	v_mul_lo_u32 v31, s47, v29
	v_mul_lo_u32 v32, s46, v30
	v_mad_u64_u32 v[23:24], s[2:3], s46, v29, 0
	v_add3_u32 v24, v24, v32, v31
	v_sub_u32_e32 v31, v26, v24
	v_mov_b32_e32 v32, s47
	v_sub_co_u32_e32 v23, vcc, v25, v23
	v_subb_co_u32_e64 v25, s[2:3], v31, v32, vcc
	v_subrev_co_u32_e64 v31, s[2:3], s46, v23
	v_subbrev_co_u32_e64 v25, s[2:3], 0, v25, s[2:3]
	v_cmp_le_u32_e64 s[2:3], s47, v25
	v_cndmask_b32_e64 v32, 0, -1, s[2:3]
	v_cmp_le_u32_e64 s[2:3], s46, v31
	v_cndmask_b32_e64 v31, 0, -1, s[2:3]
	v_cmp_eq_u32_e64 s[2:3], s47, v25
	v_cndmask_b32_e64 v25, v32, v31, s[2:3]
	v_add_co_u32_e64 v31, s[2:3], 2, v29
	v_subb_co_u32_e32 v24, vcc, v26, v24, vcc
	v_addc_co_u32_e64 v32, s[2:3], 0, v30, s[2:3]
	v_cmp_le_u32_e32 vcc, s47, v24
	v_add_co_u32_e64 v33, s[2:3], 1, v29
	v_cndmask_b32_e64 v26, 0, -1, vcc
	v_cmp_le_u32_e32 vcc, s46, v23
	v_addc_co_u32_e64 v34, s[2:3], 0, v30, s[2:3]
	v_cndmask_b32_e64 v23, 0, -1, vcc
	v_cmp_eq_u32_e32 vcc, s47, v24
	v_cmp_ne_u32_e64 s[2:3], 0, v25
	v_cndmask_b32_e32 v23, v26, v23, vcc
	v_cndmask_b32_e64 v25, v34, v32, s[2:3]
	v_cmp_ne_u32_e32 vcc, 0, v23
	v_cndmask_b32_e64 v23, v33, v31, s[2:3]
	v_cndmask_b32_e32 v24, v30, v25, vcc
	v_cndmask_b32_e32 v23, v29, v23, vcc
                                        ; implicit-def: $vgpr25
.LBB8_187:
	s_andn2_saveexec_b64 s[2:3], s[8:9]
	s_cbranch_execz .LBB8_189
; %bb.188:
	v_cvt_f32_u32_e32 v23, s46
	s_sub_i32 s8, 0, s46
	v_rcp_iflag_f32_e32 v23, v23
	v_mul_f32_e32 v23, 0x4f7ffffe, v23
	v_cvt_u32_f32_e32 v23, v23
	v_mul_lo_u32 v24, s8, v23
	v_mul_hi_u32 v24, v23, v24
	v_add_u32_e32 v23, v23, v24
	v_mul_hi_u32 v23, v25, v23
	v_mul_lo_u32 v24, v23, s46
	v_add_u32_e32 v26, 1, v23
	v_sub_u32_e32 v24, v25, v24
	v_subrev_u32_e32 v25, s46, v24
	v_cmp_le_u32_e32 vcc, s46, v24
	v_cndmask_b32_e32 v24, v24, v25, vcc
	v_cndmask_b32_e32 v23, v23, v26, vcc
	v_add_u32_e32 v25, 1, v23
	v_cmp_le_u32_e32 vcc, s46, v24
	v_cndmask_b32_e32 v23, v23, v25, vcc
	v_mov_b32_e32 v24, 0
.LBB8_189:
	s_or_b64 exec, exec, s[2:3]
	s_waitcnt lgkmcnt(0)
	v_add_co_u32_e32 v29, vcc, 0xc00, v28
	v_addc_co_u32_e32 v30, vcc, 0, v27, vcc
	v_or_b32_e32 v26, s47, v30
	v_mov_b32_e32 v25, 0
	v_cmp_ne_u64_e32 vcc, 0, v[25:26]
                                        ; implicit-def: $vgpr25_vgpr26
	s_and_saveexec_b64 s[2:3], vcc
	s_xor_b64 s[8:9], exec, s[2:3]
	s_cbranch_execz .LBB8_191
; %bb.190:
	v_cvt_f32_u32_e32 v25, s46
	v_cvt_f32_u32_e32 v26, s47
	s_sub_u32 s10, 0, s46
	s_subb_u32 s11, 0, s47
	v_madmk_f32 v25, v26, 0x4f800000, v25
	v_rcp_f32_e32 v25, v25
	v_mul_f32_e32 v25, 0x5f7ffffc, v25
	v_mul_f32_e32 v26, 0x2f800000, v25
	v_trunc_f32_e32 v26, v26
	v_madmk_f32 v25, v26, 0xcf800000, v25
	v_cvt_u32_f32_e32 v26, v26
	v_cvt_u32_f32_e32 v25, v25
	v_readfirstlane_b32 s12, v26
	v_readfirstlane_b32 s2, v25
	s_mul_i32 s3, s10, s12
	s_mul_hi_u32 s14, s10, s2
	s_mul_i32 s13, s11, s2
	s_add_i32 s3, s14, s3
	s_mul_i32 s15, s10, s2
	s_add_i32 s3, s3, s13
	s_mul_i32 s14, s2, s3
	s_mul_hi_u32 s16, s2, s15
	s_mul_hi_u32 s13, s2, s3
	s_add_u32 s14, s16, s14
	s_addc_u32 s13, 0, s13
	s_mul_hi_u32 s17, s12, s15
	s_mul_i32 s15, s12, s15
	s_add_u32 s14, s14, s15
	s_mul_hi_u32 s16, s12, s3
	s_addc_u32 s13, s13, s17
	s_addc_u32 s14, s16, 0
	s_mul_i32 s3, s12, s3
	s_add_u32 s3, s13, s3
	s_addc_u32 s13, 0, s14
	s_add_u32 s14, s2, s3
	s_cselect_b64 s[2:3], -1, 0
	s_cmp_lg_u64 s[2:3], 0
	s_addc_u32 s12, s12, s13
	s_mul_i32 s2, s10, s12
	s_mul_hi_u32 s3, s10, s14
	s_add_i32 s2, s3, s2
	s_mul_i32 s11, s11, s14
	s_add_i32 s2, s2, s11
	s_mul_i32 s10, s10, s14
	s_mul_hi_u32 s11, s12, s10
	s_mul_i32 s13, s12, s10
	s_mul_i32 s16, s14, s2
	s_mul_hi_u32 s10, s14, s10
	s_mul_hi_u32 s15, s14, s2
	s_add_u32 s10, s10, s16
	s_addc_u32 s15, 0, s15
	s_add_u32 s10, s10, s13
	s_mul_hi_u32 s3, s12, s2
	s_addc_u32 s10, s15, s11
	s_addc_u32 s3, s3, 0
	s_mul_i32 s2, s12, s2
	s_add_u32 s2, s10, s2
	s_addc_u32 s10, 0, s3
	s_add_u32 s11, s14, s2
	s_cselect_b64 s[2:3], -1, 0
	s_cmp_lg_u64 s[2:3], 0
	s_addc_u32 s10, s12, s10
	v_mad_u64_u32 v[25:26], s[2:3], v29, s10, 0
	v_mul_hi_u32 v31, v29, s11
	v_add_co_u32_e32 v33, vcc, v31, v25
	v_addc_co_u32_e32 v34, vcc, 0, v26, vcc
	v_mad_u64_u32 v[25:26], s[2:3], v30, s11, 0
	v_mad_u64_u32 v[31:32], s[2:3], v30, s10, 0
	v_add_co_u32_e32 v25, vcc, v33, v25
	v_addc_co_u32_e32 v25, vcc, v34, v26, vcc
	v_addc_co_u32_e32 v26, vcc, 0, v32, vcc
	v_add_co_u32_e32 v31, vcc, v25, v31
	v_addc_co_u32_e32 v32, vcc, 0, v26, vcc
	v_mul_lo_u32 v33, s47, v31
	v_mul_lo_u32 v34, s46, v32
	v_mad_u64_u32 v[25:26], s[2:3], s46, v31, 0
	v_add3_u32 v26, v26, v34, v33
	v_sub_u32_e32 v33, v30, v26
	v_mov_b32_e32 v34, s47
	v_sub_co_u32_e32 v25, vcc, v29, v25
	v_subb_co_u32_e64 v29, s[2:3], v33, v34, vcc
	v_subrev_co_u32_e64 v33, s[2:3], s46, v25
	v_subbrev_co_u32_e64 v29, s[2:3], 0, v29, s[2:3]
	v_cmp_le_u32_e64 s[2:3], s47, v29
	v_cndmask_b32_e64 v34, 0, -1, s[2:3]
	v_cmp_le_u32_e64 s[2:3], s46, v33
	v_cndmask_b32_e64 v33, 0, -1, s[2:3]
	v_cmp_eq_u32_e64 s[2:3], s47, v29
	v_cndmask_b32_e64 v29, v34, v33, s[2:3]
	v_add_co_u32_e64 v33, s[2:3], 2, v31
	v_subb_co_u32_e32 v26, vcc, v30, v26, vcc
	v_addc_co_u32_e64 v34, s[2:3], 0, v32, s[2:3]
	v_cmp_le_u32_e32 vcc, s47, v26
	v_add_co_u32_e64 v35, s[2:3], 1, v31
	v_cndmask_b32_e64 v30, 0, -1, vcc
	v_cmp_le_u32_e32 vcc, s46, v25
	v_addc_co_u32_e64 v36, s[2:3], 0, v32, s[2:3]
	v_cndmask_b32_e64 v25, 0, -1, vcc
	v_cmp_eq_u32_e32 vcc, s47, v26
	v_cmp_ne_u32_e64 s[2:3], 0, v29
	v_cndmask_b32_e32 v25, v30, v25, vcc
	v_cndmask_b32_e64 v29, v36, v34, s[2:3]
	v_cmp_ne_u32_e32 vcc, 0, v25
	v_cndmask_b32_e64 v25, v35, v33, s[2:3]
	v_cndmask_b32_e32 v26, v32, v29, vcc
	v_cndmask_b32_e32 v25, v31, v25, vcc
                                        ; implicit-def: $vgpr29
.LBB8_191:
	s_andn2_saveexec_b64 s[2:3], s[8:9]
	s_cbranch_execz .LBB8_193
; %bb.192:
	v_cvt_f32_u32_e32 v25, s46
	s_sub_i32 s8, 0, s46
	v_rcp_iflag_f32_e32 v25, v25
	v_mul_f32_e32 v25, 0x4f7ffffe, v25
	v_cvt_u32_f32_e32 v25, v25
	v_mul_lo_u32 v26, s8, v25
	v_mul_hi_u32 v26, v25, v26
	v_add_u32_e32 v25, v25, v26
	v_mul_hi_u32 v25, v29, v25
	v_mul_lo_u32 v26, v25, s46
	v_add_u32_e32 v30, 1, v25
	v_sub_u32_e32 v26, v29, v26
	v_subrev_u32_e32 v29, s46, v26
	v_cmp_le_u32_e32 vcc, s46, v26
	v_cndmask_b32_e32 v26, v26, v29, vcc
	v_cndmask_b32_e32 v25, v25, v30, vcc
	v_add_u32_e32 v29, 1, v25
	v_cmp_le_u32_e32 vcc, s46, v26
	v_cndmask_b32_e32 v25, v25, v29, vcc
	v_mov_b32_e32 v26, 0
.LBB8_193:
	s_or_b64 exec, exec, s[2:3]
	v_add_co_u32_e32 v29, vcc, 0xd00, v28
	v_addc_co_u32_e32 v30, vcc, 0, v27, vcc
	v_or_b32_e32 v28, s47, v30
	v_mov_b32_e32 v27, 0
	v_cmp_ne_u64_e32 vcc, 0, v[27:28]
                                        ; implicit-def: $vgpr27_vgpr28
	s_and_saveexec_b64 s[2:3], vcc
	s_xor_b64 s[8:9], exec, s[2:3]
	s_cbranch_execz .LBB8_195
; %bb.194:
	v_cvt_f32_u32_e32 v27, s46
	v_cvt_f32_u32_e32 v28, s47
	s_sub_u32 s10, 0, s46
	s_subb_u32 s11, 0, s47
	v_madmk_f32 v27, v28, 0x4f800000, v27
	v_rcp_f32_e32 v27, v27
	v_mul_f32_e32 v27, 0x5f7ffffc, v27
	v_mul_f32_e32 v28, 0x2f800000, v27
	v_trunc_f32_e32 v28, v28
	v_madmk_f32 v27, v28, 0xcf800000, v27
	v_cvt_u32_f32_e32 v28, v28
	v_cvt_u32_f32_e32 v27, v27
	v_readfirstlane_b32 s12, v28
	v_readfirstlane_b32 s2, v27
	s_mul_i32 s3, s10, s12
	s_mul_hi_u32 s14, s10, s2
	s_mul_i32 s13, s11, s2
	s_add_i32 s3, s14, s3
	s_mul_i32 s15, s10, s2
	s_add_i32 s3, s3, s13
	s_mul_i32 s14, s2, s3
	s_mul_hi_u32 s16, s2, s15
	s_mul_hi_u32 s13, s2, s3
	s_add_u32 s14, s16, s14
	s_addc_u32 s13, 0, s13
	s_mul_hi_u32 s17, s12, s15
	s_mul_i32 s15, s12, s15
	s_add_u32 s14, s14, s15
	s_mul_hi_u32 s16, s12, s3
	s_addc_u32 s13, s13, s17
	s_addc_u32 s14, s16, 0
	s_mul_i32 s3, s12, s3
	s_add_u32 s3, s13, s3
	s_addc_u32 s13, 0, s14
	s_add_u32 s14, s2, s3
	s_cselect_b64 s[2:3], -1, 0
	s_cmp_lg_u64 s[2:3], 0
	s_addc_u32 s12, s12, s13
	s_mul_i32 s2, s10, s12
	s_mul_hi_u32 s3, s10, s14
	s_add_i32 s2, s3, s2
	s_mul_i32 s11, s11, s14
	s_add_i32 s2, s2, s11
	s_mul_i32 s10, s10, s14
	s_mul_hi_u32 s11, s12, s10
	s_mul_i32 s13, s12, s10
	s_mul_i32 s16, s14, s2
	s_mul_hi_u32 s10, s14, s10
	s_mul_hi_u32 s15, s14, s2
	s_add_u32 s10, s10, s16
	s_addc_u32 s15, 0, s15
	s_add_u32 s10, s10, s13
	s_mul_hi_u32 s3, s12, s2
	s_addc_u32 s10, s15, s11
	s_addc_u32 s3, s3, 0
	s_mul_i32 s2, s12, s2
	s_add_u32 s2, s10, s2
	s_addc_u32 s10, 0, s3
	s_add_u32 s11, s14, s2
	s_cselect_b64 s[2:3], -1, 0
	s_cmp_lg_u64 s[2:3], 0
	s_addc_u32 s10, s12, s10
	v_mad_u64_u32 v[27:28], s[2:3], v29, s10, 0
	v_mul_hi_u32 v31, v29, s11
	v_add_co_u32_e32 v33, vcc, v31, v27
	v_addc_co_u32_e32 v34, vcc, 0, v28, vcc
	v_mad_u64_u32 v[27:28], s[2:3], v30, s11, 0
	v_mad_u64_u32 v[31:32], s[2:3], v30, s10, 0
	v_add_co_u32_e32 v27, vcc, v33, v27
	v_addc_co_u32_e32 v27, vcc, v34, v28, vcc
	v_addc_co_u32_e32 v28, vcc, 0, v32, vcc
	v_add_co_u32_e32 v31, vcc, v27, v31
	v_addc_co_u32_e32 v32, vcc, 0, v28, vcc
	v_mul_lo_u32 v33, s47, v31
	v_mul_lo_u32 v34, s46, v32
	v_mad_u64_u32 v[27:28], s[2:3], s46, v31, 0
	v_add3_u32 v28, v28, v34, v33
	v_sub_u32_e32 v33, v30, v28
	v_mov_b32_e32 v34, s47
	v_sub_co_u32_e32 v27, vcc, v29, v27
	v_subb_co_u32_e64 v29, s[2:3], v33, v34, vcc
	v_subrev_co_u32_e64 v33, s[2:3], s46, v27
	v_subbrev_co_u32_e64 v29, s[2:3], 0, v29, s[2:3]
	v_cmp_le_u32_e64 s[2:3], s47, v29
	v_cndmask_b32_e64 v34, 0, -1, s[2:3]
	v_cmp_le_u32_e64 s[2:3], s46, v33
	v_cndmask_b32_e64 v33, 0, -1, s[2:3]
	v_cmp_eq_u32_e64 s[2:3], s47, v29
	v_cndmask_b32_e64 v29, v34, v33, s[2:3]
	v_add_co_u32_e64 v33, s[2:3], 2, v31
	v_subb_co_u32_e32 v28, vcc, v30, v28, vcc
	v_addc_co_u32_e64 v34, s[2:3], 0, v32, s[2:3]
	v_cmp_le_u32_e32 vcc, s47, v28
	v_add_co_u32_e64 v35, s[2:3], 1, v31
	v_cndmask_b32_e64 v30, 0, -1, vcc
	v_cmp_le_u32_e32 vcc, s46, v27
	v_addc_co_u32_e64 v36, s[2:3], 0, v32, s[2:3]
	v_cndmask_b32_e64 v27, 0, -1, vcc
	v_cmp_eq_u32_e32 vcc, s47, v28
	v_cmp_ne_u32_e64 s[2:3], 0, v29
	v_cndmask_b32_e32 v27, v30, v27, vcc
	v_cndmask_b32_e64 v29, v36, v34, s[2:3]
	v_cmp_ne_u32_e32 vcc, 0, v27
	v_cndmask_b32_e64 v27, v35, v33, s[2:3]
	v_cndmask_b32_e32 v28, v32, v29, vcc
	v_cndmask_b32_e32 v27, v31, v27, vcc
                                        ; implicit-def: $vgpr29
.LBB8_195:
	s_andn2_saveexec_b64 s[2:3], s[8:9]
	s_cbranch_execz .LBB8_197
; %bb.196:
	v_cvt_f32_u32_e32 v27, s46
	s_sub_i32 s8, 0, s46
	v_rcp_iflag_f32_e32 v27, v27
	v_mul_f32_e32 v27, 0x4f7ffffe, v27
	v_cvt_u32_f32_e32 v27, v27
	v_mul_lo_u32 v28, s8, v27
	v_mul_hi_u32 v28, v27, v28
	v_add_u32_e32 v27, v27, v28
	v_mul_hi_u32 v27, v29, v27
	v_mul_lo_u32 v28, v27, s46
	v_add_u32_e32 v30, 1, v27
	v_sub_u32_e32 v28, v29, v28
	v_subrev_u32_e32 v29, s46, v28
	v_cmp_le_u32_e32 vcc, s46, v28
	v_cndmask_b32_e32 v28, v28, v29, vcc
	v_cndmask_b32_e32 v27, v27, v30, vcc
	v_add_u32_e32 v29, 1, v27
	v_cmp_le_u32_e32 vcc, s46, v28
	v_cndmask_b32_e32 v27, v27, v29, vcc
	v_mov_b32_e32 v28, 0
.LBB8_197:
	s_or_b64 exec, exec, s[2:3]
	v_lshlrev_b32_e32 v29, 3, v0
	s_movk_i32 s2, 0x68
	ds_write2st64_b64 v29, v[1:2], v[3:4] offset1:4
	ds_write2st64_b64 v29, v[5:6], v[7:8] offset0:8 offset1:12
	ds_write2st64_b64 v29, v[9:10], v[11:12] offset0:16 offset1:20
	;; [unrolled: 1-line block ×6, first 2 shown]
	v_mad_u32_u24 v29, v0, s2, v29
	s_waitcnt lgkmcnt(0)
	s_barrier
	ds_read_b128 v[25:28], v29
	ds_read_b128 v[21:24], v29 offset:16
	ds_read_b128 v[17:20], v29 offset:32
	;; [unrolled: 1-line block ×6, first 2 shown]
	s_cmp_eq_u64 s[48:49], 0
	s_cbranch_scc1 .LBB8_213
; %bb.198:
	s_andn2_b64 vcc, exec, s[50:51]
	s_cbranch_vccnz .LBB8_214
; %bb.199:
	s_lshl_b64 s[2:3], s[48:49], 3
	s_add_u32 s2, s42, s2
	s_addc_u32 s3, s43, s3
	s_add_u32 s2, s2, -8
	s_addc_u32 s3, s3, -1
	s_load_dwordx2 s[8:9], s[2:3], 0x0
	s_cbranch_execz .LBB8_215
	s_branch .LBB8_218
.LBB8_200:
	v_lshlrev_b32_e32 v40, 2, v0
	v_mov_b32_e32 v41, s55
	v_add_co_u32_e32 v40, vcc, s7, v40
	v_addc_co_u32_e32 v41, vcc, 0, v41, vcc
	flat_load_dword v40, v[40:41]
	s_or_b64 exec, exec, s[36:37]
                                        ; implicit-def: $vgpr41
	s_and_saveexec_b64 s[2:3], s[34:35]
	s_cbranch_execz .LBB8_101
.LBB8_201:
	v_lshlrev_b32_e32 v41, 2, v0
	v_mov_b32_e32 v42, s55
	v_add_co_u32_e32 v41, vcc, s7, v41
	v_addc_co_u32_e32 v42, vcc, 0, v42, vcc
	flat_load_dword v41, v[41:42] offset:1024
	s_or_b64 exec, exec, s[2:3]
                                        ; implicit-def: $vgpr42
	s_and_saveexec_b64 s[2:3], s[8:9]
	s_cbranch_execz .LBB8_102
.LBB8_202:
	v_lshlrev_b32_e32 v42, 2, v0
	v_mov_b32_e32 v43, s55
	v_add_co_u32_e32 v42, vcc, s7, v42
	v_addc_co_u32_e32 v43, vcc, 0, v43, vcc
	flat_load_dword v42, v[42:43] offset:2048
	s_or_b64 exec, exec, s[2:3]
                                        ; implicit-def: $vgpr43
	s_and_saveexec_b64 s[2:3], s[10:11]
	s_cbranch_execz .LBB8_103
.LBB8_203:
	v_lshlrev_b32_e32 v43, 2, v0
	v_mov_b32_e32 v44, s55
	v_add_co_u32_e32 v43, vcc, s7, v43
	v_addc_co_u32_e32 v44, vcc, 0, v44, vcc
	flat_load_dword v43, v[43:44] offset:3072
	s_or_b64 exec, exec, s[2:3]
                                        ; implicit-def: $vgpr44
	s_and_saveexec_b64 s[2:3], s[12:13]
	s_cbranch_execz .LBB8_104
.LBB8_204:
	v_lshlrev_b32_e32 v29, 2, v29
	v_mov_b32_e32 v45, s55
	v_add_co_u32_e32 v44, vcc, s7, v29
	v_addc_co_u32_e32 v45, vcc, 0, v45, vcc
	flat_load_dword v44, v[44:45]
	s_or_b64 exec, exec, s[2:3]
                                        ; implicit-def: $vgpr29
	s_and_saveexec_b64 s[2:3], s[14:15]
	s_cbranch_execz .LBB8_105
.LBB8_205:
	v_lshlrev_b32_e32 v29, 2, v30
	v_mov_b32_e32 v30, s55
	v_add_co_u32_e32 v29, vcc, s7, v29
	v_addc_co_u32_e32 v30, vcc, 0, v30, vcc
	flat_load_dword v29, v[29:30]
	s_or_b64 exec, exec, s[2:3]
                                        ; implicit-def: $vgpr30
	s_and_saveexec_b64 s[2:3], s[16:17]
	s_cbranch_execz .LBB8_106
.LBB8_206:
	v_lshlrev_b32_e32 v30, 2, v31
	v_mov_b32_e32 v31, s55
	v_add_co_u32_e32 v30, vcc, s7, v30
	v_addc_co_u32_e32 v31, vcc, 0, v31, vcc
	flat_load_dword v30, v[30:31]
	s_or_b64 exec, exec, s[2:3]
                                        ; implicit-def: $vgpr31
	s_and_saveexec_b64 s[2:3], s[18:19]
	s_cbranch_execz .LBB8_107
.LBB8_207:
	v_lshlrev_b32_e32 v31, 2, v32
	v_mov_b32_e32 v32, s55
	v_add_co_u32_e32 v31, vcc, s7, v31
	v_addc_co_u32_e32 v32, vcc, 0, v32, vcc
	flat_load_dword v31, v[31:32]
	s_or_b64 exec, exec, s[2:3]
                                        ; implicit-def: $vgpr32
	s_and_saveexec_b64 s[2:3], s[20:21]
	s_cbranch_execz .LBB8_108
.LBB8_208:
	v_lshlrev_b32_e32 v32, 2, v33
	v_mov_b32_e32 v33, s55
	v_add_co_u32_e32 v32, vcc, s7, v32
	v_addc_co_u32_e32 v33, vcc, 0, v33, vcc
	flat_load_dword v32, v[32:33]
	s_or_b64 exec, exec, s[2:3]
                                        ; implicit-def: $vgpr33
	s_and_saveexec_b64 s[2:3], s[22:23]
	s_cbranch_execz .LBB8_109
.LBB8_209:
	v_lshlrev_b32_e32 v33, 2, v34
	v_mov_b32_e32 v34, s55
	v_add_co_u32_e32 v33, vcc, s7, v33
	v_addc_co_u32_e32 v34, vcc, 0, v34, vcc
	flat_load_dword v33, v[33:34]
	s_or_b64 exec, exec, s[2:3]
                                        ; implicit-def: $vgpr34
	s_and_saveexec_b64 s[2:3], s[24:25]
	s_cbranch_execz .LBB8_110
.LBB8_210:
	v_lshlrev_b32_e32 v34, 2, v35
	v_mov_b32_e32 v35, s55
	v_add_co_u32_e32 v34, vcc, s7, v34
	v_addc_co_u32_e32 v35, vcc, 0, v35, vcc
	flat_load_dword v34, v[34:35]
	s_or_b64 exec, exec, s[2:3]
                                        ; implicit-def: $vgpr35
	s_and_saveexec_b64 s[2:3], s[26:27]
	s_cbranch_execz .LBB8_111
.LBB8_211:
	v_lshlrev_b32_e32 v35, 2, v36
	v_mov_b32_e32 v36, s55
	v_add_co_u32_e32 v35, vcc, s7, v35
	v_addc_co_u32_e32 v36, vcc, 0, v36, vcc
	flat_load_dword v35, v[35:36]
	s_or_b64 exec, exec, s[2:3]
                                        ; implicit-def: $vgpr36
	s_and_saveexec_b64 s[2:3], s[28:29]
	s_cbranch_execz .LBB8_112
.LBB8_212:
	v_lshlrev_b32_e32 v36, 2, v37
	v_mov_b32_e32 v37, s55
	v_add_co_u32_e32 v36, vcc, s7, v36
	v_addc_co_u32_e32 v37, vcc, 0, v37, vcc
	flat_load_dword v36, v[36:37]
	s_or_b64 exec, exec, s[2:3]
                                        ; implicit-def: $vgpr37
	s_and_saveexec_b64 s[2:3], s[30:31]
	s_cbranch_execnz .LBB8_113
	s_branch .LBB8_114
.LBB8_213:
                                        ; implicit-def: $sgpr8_sgpr9
	s_branch .LBB8_219
.LBB8_214:
                                        ; implicit-def: $sgpr8_sgpr9
.LBB8_215:
	s_add_u32 s2, s44, -1
	s_addc_u32 s3, s45, -1
	s_waitcnt lgkmcnt(0)
	s_or_b64 s[8:9], s[2:3], s[46:47]
	s_mov_b32 s8, 0
	s_cmp_lg_u64 s[8:9], 0
	s_mov_b64 s[10:11], -1
	s_cbranch_scc0 .LBB8_327
; %bb.216:
	v_cvt_f32_u32_e32 v30, s46
	v_cvt_f32_u32_e32 v31, s47
	s_sub_u32 s12, 0, s46
	s_subb_u32 s13, 0, s47
	v_madmk_f32 v30, v31, 0x4f800000, v30
	v_rcp_f32_e32 v30, v30
	v_mul_f32_e32 v30, 0x5f7ffffc, v30
	v_mul_f32_e32 v31, 0x2f800000, v30
	v_trunc_f32_e32 v31, v31
	v_madmk_f32 v30, v31, 0xcf800000, v30
	v_cvt_u32_f32_e32 v31, v31
	v_cvt_u32_f32_e32 v30, v30
	v_readfirstlane_b32 s14, v31
	v_readfirstlane_b32 s8, v30
	s_mul_i32 s9, s12, s14
	s_mul_hi_u32 s16, s12, s8
	s_mul_i32 s15, s13, s8
	s_add_i32 s9, s16, s9
	s_add_i32 s9, s9, s15
	s_mul_i32 s17, s12, s8
	s_mul_i32 s16, s8, s9
	s_mul_hi_u32 s18, s8, s17
	s_mul_hi_u32 s15, s8, s9
	s_add_u32 s16, s18, s16
	s_addc_u32 s15, 0, s15
	s_mul_hi_u32 s19, s14, s17
	s_mul_i32 s17, s14, s17
	s_add_u32 s16, s16, s17
	s_mul_hi_u32 s18, s14, s9
	s_addc_u32 s15, s15, s19
	s_addc_u32 s16, s18, 0
	s_mul_i32 s9, s14, s9
	s_add_u32 s9, s15, s9
	s_addc_u32 s15, 0, s16
	s_add_u32 s16, s8, s9
	s_cselect_b64 s[8:9], -1, 0
	s_cmp_lg_u64 s[8:9], 0
	s_addc_u32 s14, s14, s15
	s_mul_i32 s8, s12, s14
	s_mul_hi_u32 s9, s12, s16
	s_add_i32 s8, s9, s8
	s_mul_i32 s13, s13, s16
	s_add_i32 s8, s8, s13
	s_mul_i32 s12, s12, s16
	s_mul_hi_u32 s13, s14, s12
	s_mul_i32 s15, s14, s12
	s_mul_i32 s18, s16, s8
	s_mul_hi_u32 s12, s16, s12
	s_mul_hi_u32 s17, s16, s8
	s_add_u32 s12, s12, s18
	s_addc_u32 s17, 0, s17
	s_add_u32 s12, s12, s15
	s_mul_hi_u32 s9, s14, s8
	s_addc_u32 s12, s17, s13
	s_addc_u32 s9, s9, 0
	s_mul_i32 s8, s14, s8
	s_add_u32 s8, s12, s8
	s_addc_u32 s12, 0, s9
	s_add_u32 s13, s16, s8
	s_cselect_b64 s[8:9], -1, 0
	s_cmp_lg_u64 s[8:9], 0
	s_addc_u32 s8, s14, s12
	s_mul_i32 s12, s2, s8
	s_mul_hi_u32 s14, s2, s13
	s_mul_hi_u32 s9, s2, s8
	s_add_u32 s12, s14, s12
	s_addc_u32 s9, 0, s9
	s_mul_hi_u32 s15, s3, s13
	s_mul_i32 s13, s3, s13
	s_add_u32 s12, s12, s13
	s_mul_hi_u32 s14, s3, s8
	s_addc_u32 s9, s9, s15
	s_addc_u32 s12, s14, 0
	s_mul_i32 s8, s3, s8
	s_add_u32 s14, s9, s8
	s_addc_u32 s15, 0, s12
	s_mul_i32 s8, s46, s15
	s_mul_hi_u32 s9, s46, s14
	s_add_i32 s8, s9, s8
	s_mul_i32 s9, s47, s14
	s_add_i32 s16, s8, s9
	s_sub_i32 s12, s3, s16
	s_mul_i32 s8, s46, s14
	s_sub_u32 s17, s2, s8
	s_cselect_b64 s[8:9], -1, 0
	s_cmp_lg_u64 s[8:9], 0
	s_subb_u32 s18, s12, s47
	s_sub_u32 s19, s17, s46
	s_cselect_b64 s[12:13], -1, 0
	s_cmp_lg_u64 s[12:13], 0
	s_subb_u32 s12, s18, 0
	s_cmp_ge_u32 s12, s47
	s_cselect_b32 s13, -1, 0
	s_cmp_ge_u32 s19, s46
	s_cselect_b32 s18, -1, 0
	s_cmp_eq_u32 s12, s47
	s_cselect_b32 s12, s18, s13
	s_add_u32 s13, s14, 1
	s_addc_u32 s18, s15, 0
	s_add_u32 s19, s14, 2
	s_addc_u32 s20, s15, 0
	s_cmp_lg_u32 s12, 0
	s_cselect_b32 s12, s19, s13
	s_cselect_b32 s13, s20, s18
	s_cmp_lg_u64 s[8:9], 0
	s_subb_u32 s3, s3, s16
	s_cmp_ge_u32 s3, s47
	s_cselect_b32 s8, -1, 0
	s_cmp_ge_u32 s17, s46
	s_cselect_b32 s9, -1, 0
	s_cmp_eq_u32 s3, s47
	s_cselect_b32 s3, s9, s8
	s_cmp_lg_u32 s3, 0
	s_cselect_b32 s9, s13, s15
	s_cselect_b32 s8, s12, s14
	s_cbranch_execnz .LBB8_218
.LBB8_217:
	v_cvt_f32_u32_e32 v30, s46
	s_sub_i32 s3, 0, s46
	s_mov_b32 s9, 0
	v_rcp_iflag_f32_e32 v30, v30
	v_mul_f32_e32 v30, 0x4f7ffffe, v30
	v_cvt_u32_f32_e32 v30, v30
	v_readfirstlane_b32 s8, v30
	s_mul_i32 s3, s3, s8
	s_mul_hi_u32 s3, s8, s3
	s_add_i32 s8, s8, s3
	s_mul_hi_u32 s3, s2, s8
	s_mul_i32 s10, s3, s46
	s_sub_i32 s2, s2, s10
	s_add_i32 s8, s3, 1
	s_sub_i32 s10, s2, s46
	s_cmp_ge_u32 s2, s46
	s_cselect_b32 s3, s8, s3
	s_cselect_b32 s2, s10, s2
	s_add_i32 s8, s3, 1
	s_cmp_ge_u32 s2, s46
	s_cselect_b32 s8, s8, s3
.LBB8_218:
	s_cbranch_execnz .LBB8_222
.LBB8_219:
	s_or_b64 s[2:3], s[44:45], s[46:47]
	s_mov_b32 s2, 0
	s_cmp_lg_u64 s[2:3], 0
	s_cbranch_scc0 .LBB8_325
; %bb.220:
	v_cvt_f32_u32_e32 v30, s46
	v_cvt_f32_u32_e32 v31, s47
	s_sub_u32 s10, 0, s46
	s_subb_u32 s11, 0, s47
	v_madmk_f32 v30, v31, 0x4f800000, v30
	v_rcp_f32_e32 v30, v30
	v_mul_f32_e32 v30, 0x5f7ffffc, v30
	v_mul_f32_e32 v31, 0x2f800000, v30
	v_trunc_f32_e32 v31, v31
	v_madmk_f32 v30, v31, 0xcf800000, v30
	v_cvt_u32_f32_e32 v31, v31
	v_cvt_u32_f32_e32 v30, v30
	v_readfirstlane_b32 s12, v31
	s_waitcnt lgkmcnt(0)
	v_readfirstlane_b32 s8, v30
	s_mul_i32 s9, s10, s12
	s_mul_hi_u32 s14, s10, s8
	s_mul_i32 s13, s11, s8
	s_add_i32 s9, s14, s9
	s_add_i32 s9, s9, s13
	s_mul_i32 s15, s10, s8
	s_mul_i32 s14, s8, s9
	s_mul_hi_u32 s16, s8, s15
	s_mul_hi_u32 s13, s8, s9
	s_add_u32 s14, s16, s14
	s_addc_u32 s13, 0, s13
	s_mul_hi_u32 s17, s12, s15
	s_mul_i32 s15, s12, s15
	s_add_u32 s14, s14, s15
	s_mul_hi_u32 s16, s12, s9
	s_addc_u32 s13, s13, s17
	s_addc_u32 s14, s16, 0
	s_mul_i32 s9, s12, s9
	s_add_u32 s9, s13, s9
	s_addc_u32 s13, 0, s14
	s_add_u32 s14, s8, s9
	s_cselect_b64 s[8:9], -1, 0
	s_cmp_lg_u64 s[8:9], 0
	s_addc_u32 s12, s12, s13
	s_mul_i32 s8, s10, s12
	s_mul_hi_u32 s9, s10, s14
	s_add_i32 s8, s9, s8
	s_mul_i32 s11, s11, s14
	s_add_i32 s8, s8, s11
	s_mul_i32 s10, s10, s14
	s_mul_hi_u32 s11, s12, s10
	s_mul_i32 s13, s12, s10
	s_mul_i32 s16, s14, s8
	s_mul_hi_u32 s10, s14, s10
	s_mul_hi_u32 s15, s14, s8
	s_add_u32 s10, s10, s16
	s_addc_u32 s15, 0, s15
	s_add_u32 s10, s10, s13
	s_mul_hi_u32 s9, s12, s8
	s_addc_u32 s10, s15, s11
	s_addc_u32 s9, s9, 0
	s_mul_i32 s8, s12, s8
	s_add_u32 s8, s10, s8
	s_addc_u32 s10, 0, s9
	s_add_u32 s11, s14, s8
	s_cselect_b64 s[8:9], -1, 0
	s_cmp_lg_u64 s[8:9], 0
	s_addc_u32 s8, s12, s10
	s_mul_i32 s10, s44, s8
	s_mul_hi_u32 s12, s44, s11
	s_mul_hi_u32 s9, s44, s8
	s_add_u32 s10, s12, s10
	s_addc_u32 s9, 0, s9
	s_mul_hi_u32 s13, s45, s11
	s_mul_i32 s11, s45, s11
	s_add_u32 s10, s10, s11
	s_mul_hi_u32 s12, s45, s8
	s_addc_u32 s9, s9, s13
	s_addc_u32 s10, s12, 0
	s_mul_i32 s8, s45, s8
	s_add_u32 s12, s9, s8
	s_addc_u32 s13, 0, s10
	s_mul_i32 s8, s46, s13
	s_mul_hi_u32 s9, s46, s12
	s_add_i32 s8, s9, s8
	s_mul_i32 s9, s47, s12
	s_add_i32 s14, s8, s9
	s_sub_i32 s10, s45, s14
	s_mul_i32 s8, s46, s12
	s_sub_u32 s15, s44, s8
	s_cselect_b64 s[8:9], -1, 0
	s_cmp_lg_u64 s[8:9], 0
	s_subb_u32 s16, s10, s47
	s_sub_u32 s17, s15, s46
	s_cselect_b64 s[10:11], -1, 0
	s_cmp_lg_u64 s[10:11], 0
	s_subb_u32 s10, s16, 0
	s_cmp_ge_u32 s10, s47
	s_cselect_b32 s11, -1, 0
	s_cmp_ge_u32 s17, s46
	s_cselect_b32 s16, -1, 0
	s_cmp_eq_u32 s10, s47
	s_cselect_b32 s10, s16, s11
	s_add_u32 s11, s12, 1
	s_addc_u32 s16, s13, 0
	s_add_u32 s17, s12, 2
	s_addc_u32 s18, s13, 0
	s_cmp_lg_u32 s10, 0
	s_cselect_b32 s10, s17, s11
	s_cselect_b32 s11, s18, s16
	s_cmp_lg_u64 s[8:9], 0
	s_subb_u32 s8, s45, s14
	s_cmp_ge_u32 s8, s47
	s_cselect_b32 s9, -1, 0
	s_cmp_ge_u32 s15, s46
	s_cselect_b32 s14, -1, 0
	s_cmp_eq_u32 s8, s47
	s_cselect_b32 s8, s14, s9
	s_cmp_lg_u32 s8, 0
	s_cselect_b32 s9, s11, s13
	s_cselect_b32 s8, s10, s12
	s_cbranch_execnz .LBB8_222
.LBB8_221:
	v_cvt_f32_u32_e32 v30, s46
	s_sub_i32 s2, 0, s46
	s_waitcnt lgkmcnt(0)
	s_mov_b32 s9, 0
	v_rcp_iflag_f32_e32 v30, v30
	v_mul_f32_e32 v30, 0x4f7ffffe, v30
	v_cvt_u32_f32_e32 v30, v30
	v_readfirstlane_b32 s3, v30
	s_mul_i32 s2, s2, s3
	s_mul_hi_u32 s2, s3, s2
	s_add_i32 s3, s3, s2
	s_mul_hi_u32 s2, s44, s3
	s_mul_i32 s8, s2, s46
	s_sub_i32 s8, s44, s8
	s_add_i32 s3, s2, 1
	s_sub_i32 s10, s8, s46
	s_cmp_ge_u32 s8, s46
	s_cselect_b32 s2, s3, s2
	s_cselect_b32 s8, s10, s8
	s_add_i32 s3, s2, 1
	s_cmp_ge_u32 s8, s46
	s_cselect_b32 s8, s3, s2
.LBB8_222:
	s_movk_i32 s2, 0xff98
	v_mad_i32_i24 v31, v0, s2, v29
	s_waitcnt lgkmcnt(0)
	v_mov_b32_e32 v30, s9
	v_cmp_ne_u32_e32 vcc, 0, v0
	v_mov_b32_e32 v29, s8
	ds_write_b64 v31, v[7:8] offset:28672
	s_waitcnt lgkmcnt(0)
	s_barrier
	s_and_saveexec_b64 s[2:3], vcc
; %bb.223:
	ds_read_b64 v[29:30], v31 offset:28664
; %bb.224:
	s_or_b64 exec, exec, s[2:3]
	v_lshlrev_b32_e32 v32, 2, v0
	v_mov_b32_e32 v33, s55
	v_add_co_u32_e32 v32, vcc, s7, v32
	v_addc_co_u32_e32 v33, vcc, 0, v33, vcc
	s_movk_i32 s2, 0x1000
	v_add_co_u32_e32 v34, vcc, s2, v32
	v_addc_co_u32_e32 v35, vcc, 0, v33, vcc
	s_movk_i32 s2, 0x2000
	s_waitcnt lgkmcnt(0)
	s_barrier
	flat_load_dword v36, v[32:33]
	flat_load_dword v37, v[32:33] offset:1024
	flat_load_dword v38, v[32:33] offset:2048
	;; [unrolled: 1-line block ×3, first 2 shown]
	flat_load_dword v40, v[34:35]
	flat_load_dword v41, v[34:35] offset:1024
	flat_load_dword v42, v[34:35] offset:2048
	;; [unrolled: 1-line block ×3, first 2 shown]
	v_add_co_u32_e32 v34, vcc, s2, v32
	v_addc_co_u32_e32 v35, vcc, 0, v33, vcc
	s_movk_i32 s2, 0x3000
	v_add_co_u32_e32 v32, vcc, s2, v32
	v_addc_co_u32_e32 v33, vcc, 0, v33, vcc
	flat_load_dword v44, v[34:35]
	flat_load_dword v45, v[34:35] offset:1024
	flat_load_dword v46, v[34:35] offset:2048
	;; [unrolled: 1-line block ×3, first 2 shown]
	flat_load_dword v48, v[32:33]
	flat_load_dword v49, v[32:33] offset:1024
	v_cmp_ne_u64_e32 vcc, v[29:30], v[25:26]
	v_cmp_ne_u64_e64 s[8:9], v[5:6], v[7:8]
	v_cndmask_b32_e64 v30, 0, 1, vcc
	v_cmp_ne_u64_e32 vcc, v[25:26], v[27:28]
	v_lshlrev_b32_e32 v7, 2, v0
	v_cndmask_b32_e64 v56, 0, 1, vcc
	v_cmp_ne_u64_e32 vcc, v[27:28], v[21:22]
	v_sub_u32_e32 v7, v31, v7
	v_cndmask_b32_e64 v58, 0, 1, vcc
	v_cmp_ne_u64_e32 vcc, v[21:22], v[23:24]
	s_mov_b64 s[12:13], -1
	v_cndmask_b32_e64 v60, 0, 1, vcc
	v_cmp_ne_u64_e32 vcc, v[23:24], v[17:18]
	s_waitcnt vmcnt(0) lgkmcnt(0)
	ds_write2st64_b32 v7, v36, v37 offset1:4
	ds_write2st64_b32 v7, v38, v39 offset0:8 offset1:12
	ds_write2st64_b32 v7, v40, v41 offset0:16 offset1:20
	ds_write2st64_b32 v7, v42, v43 offset0:24 offset1:28
	ds_write2st64_b32 v7, v44, v45 offset0:32 offset1:36
	ds_write2st64_b32 v7, v46, v47 offset0:40 offset1:44
	ds_write2st64_b32 v7, v48, v49 offset0:48 offset1:52
	v_cndmask_b32_e64 v62, 0, 1, vcc
	v_cmp_ne_u64_e32 vcc, v[17:18], v[19:20]
	s_waitcnt lgkmcnt(0)
	v_cndmask_b32_e64 v64, 0, 1, vcc
	v_cmp_ne_u64_e32 vcc, v[19:20], v[13:14]
	v_mad_u32_u24 v19, v0, 52, v7
	v_cndmask_b32_e64 v66, 0, 1, vcc
	v_cmp_ne_u64_e32 vcc, v[13:14], v[15:16]
	s_barrier
	v_cndmask_b32_e64 v68, 0, 1, vcc
	v_cmp_ne_u64_e32 vcc, v[15:16], v[9:10]
	v_cndmask_b32_e64 v70, 0, 1, vcc
	v_cmp_ne_u64_e32 vcc, v[9:10], v[11:12]
	ds_read2_b64 v[7:10], v19 offset1:1
	v_cndmask_b32_e64 v72, 0, 1, vcc
	v_cmp_ne_u64_e32 vcc, v[11:12], v[1:2]
	ds_read2_b64 v[11:14], v19 offset0:2 offset1:3
	ds_read2_b64 v[15:18], v19 offset0:4 offset1:5
	ds_read_b64 v[77:78], v19 offset:48
	v_cndmask_b32_e64 v74, 0, 1, vcc
	v_cmp_ne_u64_e32 vcc, v[1:2], v[3:4]
	s_waitcnt lgkmcnt(3)
	v_mov_b32_e32 v55, v8
	v_mov_b32_e32 v57, v9
	;; [unrolled: 1-line block ×3, first 2 shown]
	s_waitcnt lgkmcnt(2)
	v_mov_b32_e32 v61, v11
	v_mov_b32_e32 v63, v12
	;; [unrolled: 1-line block ×4, first 2 shown]
	s_waitcnt lgkmcnt(1)
	v_mov_b32_e32 v69, v15
	v_mov_b32_e32 v71, v16
	;; [unrolled: 1-line block ×3, first 2 shown]
	v_cndmask_b32_e64 v76, 0, 1, vcc
	v_mov_b32_e32 v75, v18
	v_cmp_ne_u64_e32 vcc, v[3:4], v[5:6]
	v_mov_b32_e32 v53, v55
	v_mov_b32_e32 v51, v57
	;; [unrolled: 1-line block ×12, first 2 shown]
	v_cndmask_b32_e64 v32, 0, 1, vcc
	s_waitcnt lgkmcnt(0)
	v_mov_b32_e32 v31, v77
	v_mov_b32_e32 v54, v56
	;; [unrolled: 1-line block ×12, first 2 shown]
.LBB8_225:
	v_mov_b32_e32 v9, 0
	v_mov_b32_e32 v10, 0
	s_and_saveexec_b64 s[2:3], s[12:13]
	s_cbranch_execz .LBB8_227
; %bb.226:
	v_mov_b32_e32 v33, v75
	v_mov_b32_e32 v35, v73
	;; [unrolled: 1-line block ×11, first 2 shown]
	v_cndmask_b32_e64 v10, 0, 1, s[8:9]
	v_mov_b32_e32 v9, v78
	v_mov_b32_e32 v34, v76
	;; [unrolled: 1-line block ×12, first 2 shown]
.LBB8_227:
	s_or_b64 exec, exec, s[2:3]
	s_load_dwordx2 s[36:37], s[4:5], 0x20
	s_mov_b32 s26, 0
	s_cmp_lg_u32 s6, 0
	v_or_b32_e32 v21, v42, v40
	v_or_b32_e32 v20, v34, v32
	v_mbcnt_lo_u32_b32 v18, -1, 0
	v_lshrrev_b32_e32 v19, 6, v0
	v_or_b32_e32 v17, 63, v0
	s_waitcnt lgkmcnt(0)
	s_barrier
	s_cbranch_scc0 .LBB8_251
; %bb.228:
	s_mov_b32 s27, 1
	v_cmp_gt_u64_e64 s[2:3], s[26:27], v[53:54]
	v_cmp_gt_u64_e64 s[4:5], s[26:27], v[51:52]
	v_cndmask_b32_e64 v1, 0, v29, s[2:3]
	v_add_u32_e32 v1, v1, v53
	v_cndmask_b32_e64 v1, 0, v1, s[4:5]
	v_cmp_gt_u64_e64 s[30:31], s[26:27], v[49:50]
	v_add_u32_e32 v1, v1, v51
	v_cndmask_b32_e64 v1, 0, v1, s[30:31]
	v_cmp_gt_u64_e64 s[8:9], s[26:27], v[47:48]
	v_add_u32_e32 v1, v1, v49
	v_cndmask_b32_e64 v1, 0, v1, s[8:9]
	v_cmp_gt_u64_e64 s[10:11], s[26:27], v[45:46]
	v_add_u32_e32 v1, v1, v47
	v_cndmask_b32_e64 v1, 0, v1, s[10:11]
	v_cmp_gt_u64_e64 s[12:13], s[26:27], v[43:44]
	v_add_u32_e32 v1, v1, v45
	v_cndmask_b32_e64 v1, 0, v1, s[12:13]
	v_cmp_gt_u64_e64 s[14:15], s[26:27], v[41:42]
	v_add_u32_e32 v1, v1, v43
	v_cndmask_b32_e64 v1, 0, v1, s[14:15]
	v_cmp_gt_u64_e64 s[16:17], s[26:27], v[39:40]
	v_add_u32_e32 v1, v1, v41
	v_cndmask_b32_e64 v1, 0, v1, s[16:17]
	v_cmp_gt_u64_e64 s[18:19], s[26:27], v[37:38]
	v_add_u32_e32 v1, v1, v39
	v_cndmask_b32_e64 v1, 0, v1, s[18:19]
	v_cmp_gt_u64_e64 s[20:21], s[26:27], v[35:36]
	v_add_u32_e32 v1, v1, v37
	v_cndmask_b32_e64 v1, 0, v1, s[20:21]
	v_cmp_gt_u64_e64 s[22:23], s[26:27], v[33:34]
	v_add_u32_e32 v1, v1, v35
	v_cndmask_b32_e64 v1, 0, v1, s[22:23]
	v_cmp_gt_u64_e64 s[24:25], s[26:27], v[31:32]
	v_add_u32_e32 v1, v1, v33
	v_or3_b32 v2, v21, v44, v46
	v_cndmask_b32_e64 v1, 0, v1, s[24:25]
	v_cmp_gt_u64_e64 s[26:27], s[26:27], v[9:10]
	v_or3_b32 v2, v2, v48, v50
	v_add_u32_e32 v1, v1, v31
	v_or3_b32 v2, v2, v52, v54
	v_or3_b32 v3, v20, v36, v38
	v_cndmask_b32_e64 v1, 0, v1, s[26:27]
	v_add_u32_e32 v4, v1, v9
	v_or3_b32 v1, v10, v3, v2
	v_and_b32_e32 v2, 0xff, v1
	v_mov_b32_e32 v1, 0
	v_cmp_eq_u64_e32 vcc, 0, v[1:2]
	v_mbcnt_hi_u32_b32 v14, -1, v18
	v_cndmask_b32_e32 v1, 1, v30, vcc
	v_mov_b32_dpp v3, v4 row_shr:1 row_mask:0xf bank_mask:0xf
	v_cmp_eq_u32_e32 vcc, 0, v1
	v_mov_b32_dpp v5, v1 row_shr:1 row_mask:0xf bank_mask:0xf
	v_and_b32_e32 v6, 1, v1
	v_and_b32_e32 v2, 15, v14
	v_cndmask_b32_e32 v3, 0, v3, vcc
	v_and_b32_e32 v5, 1, v5
	v_cmp_eq_u32_e32 vcc, 1, v6
	v_cndmask_b32_e64 v5, v5, 1, vcc
	v_cmp_eq_u32_e32 vcc, 0, v2
	v_cndmask_b32_e32 v1, v5, v1, vcc
	v_and_b32_e32 v6, 1, v1
	v_cmp_eq_u32_e64 s[28:29], 1, v6
	v_mov_b32_dpp v5, v1 row_shr:2 row_mask:0xf bank_mask:0xf
	v_and_b32_e32 v5, 1, v5
	v_cndmask_b32_e64 v5, v5, 1, s[28:29]
	v_cmp_lt_u32_e64 s[28:29], 1, v2
	v_cndmask_b32_e64 v3, v3, 0, vcc
	v_cmp_eq_u32_e32 vcc, 0, v1
	v_cndmask_b32_e64 v1, v1, v5, s[28:29]
	v_add_u32_e32 v3, v3, v4
	v_and_b32_e32 v6, 1, v1
	v_mov_b32_dpp v5, v1 row_shr:4 row_mask:0xf bank_mask:0xf
	v_mov_b32_dpp v4, v3 row_shr:2 row_mask:0xf bank_mask:0xf
	s_and_b64 vcc, s[28:29], vcc
	v_and_b32_e32 v5, 1, v5
	v_cmp_eq_u32_e64 s[28:29], 1, v6
	v_cndmask_b32_e32 v4, 0, v4, vcc
	v_cndmask_b32_e64 v5, v5, 1, s[28:29]
	v_cmp_lt_u32_e64 s[28:29], 3, v2
	v_add_u32_e32 v3, v4, v3
	v_cmp_eq_u32_e32 vcc, 0, v1
	v_cndmask_b32_e64 v1, v1, v5, s[28:29]
	v_mov_b32_dpp v4, v3 row_shr:4 row_mask:0xf bank_mask:0xf
	s_and_b64 vcc, s[28:29], vcc
	v_mov_b32_dpp v5, v1 row_shr:8 row_mask:0xf bank_mask:0xf
	v_and_b32_e32 v6, 1, v1
	v_cndmask_b32_e32 v4, 0, v4, vcc
	v_and_b32_e32 v5, 1, v5
	v_cmp_eq_u32_e64 s[28:29], 1, v6
	v_add_u32_e32 v3, v4, v3
	v_cmp_eq_u32_e32 vcc, 0, v1
	v_cndmask_b32_e64 v5, v5, 1, s[28:29]
	v_cmp_lt_u32_e64 s[28:29], 7, v2
	v_mov_b32_dpp v4, v3 row_shr:8 row_mask:0xf bank_mask:0xf
	s_and_b64 vcc, s[28:29], vcc
	v_cndmask_b32_e32 v2, 0, v4, vcc
	v_cndmask_b32_e64 v1, v1, v5, s[28:29]
	v_add_u32_e32 v2, v2, v3
	v_cmp_eq_u32_e32 vcc, 0, v1
	v_mov_b32_dpp v4, v1 row_bcast:15 row_mask:0xf bank_mask:0xf
	v_mov_b32_dpp v3, v2 row_bcast:15 row_mask:0xf bank_mask:0xf
	v_and_b32_e32 v7, 1, v1
	v_and_b32_e32 v6, 16, v14
	v_cndmask_b32_e32 v3, 0, v3, vcc
	v_and_b32_e32 v4, 1, v4
	v_cmp_eq_u32_e32 vcc, 1, v7
	v_bfe_i32 v5, v14, 4, 1
	v_cndmask_b32_e64 v4, v4, 1, vcc
	v_cmp_eq_u32_e32 vcc, 0, v6
	v_and_b32_e32 v3, v5, v3
	v_cndmask_b32_e32 v1, v4, v1, vcc
	v_add_u32_e32 v2, v3, v2
	v_and_b32_e32 v5, 1, v1
	v_mov_b32_dpp v3, v1 row_bcast:31 row_mask:0xf bank_mask:0xf
	v_and_b32_e32 v3, 1, v3
	v_cmp_eq_u32_e64 s[28:29], 1, v5
	v_cmp_eq_u32_e32 vcc, 0, v1
	v_cndmask_b32_e64 v3, v3, 1, s[28:29]
	v_cmp_lt_u32_e64 s[28:29], 31, v14
	v_mov_b32_dpp v4, v2 row_bcast:31 row_mask:0xf bank_mask:0xf
	s_and_b64 vcc, s[28:29], vcc
	v_cndmask_b32_e64 v3, v1, v3, s[28:29]
	v_cndmask_b32_e32 v1, 0, v4, vcc
	v_add_u32_e32 v4, v1, v2
	v_cmp_eq_u32_e32 vcc, v0, v17
	v_lshlrev_b32_e32 v5, 3, v19
	s_and_saveexec_b64 s[28:29], vcc
	s_cbranch_execz .LBB8_230
; %bb.229:
	ds_write_b32 v5, v4
	ds_write_b8 v5, v3 offset:4
.LBB8_230:
	s_or_b64 exec, exec, s[28:29]
	v_cmp_gt_u32_e32 vcc, 4, v0
	s_waitcnt lgkmcnt(0)
	s_barrier
	s_and_saveexec_b64 s[28:29], vcc
	s_cbranch_execz .LBB8_234
; %bb.231:
	v_lshlrev_b32_e32 v6, 3, v0
	ds_read_b64 v[1:2], v6
	v_and_b32_e32 v7, 3, v14
	v_cmp_ne_u32_e32 vcc, 0, v7
	s_waitcnt lgkmcnt(0)
	v_mov_b32_dpp v8, v1 row_shr:1 row_mask:0xf bank_mask:0xf
	v_mov_b32_dpp v12, v2 row_shr:1 row_mask:0xf bank_mask:0xf
	v_mov_b32_e32 v11, v2
	s_and_saveexec_b64 s[34:35], vcc
	s_cbranch_execz .LBB8_233
; %bb.232:
	v_and_b32_e32 v11, 1, v2
	v_and_b32_e32 v12, 1, v12
	v_cmp_eq_u32_e32 vcc, 1, v11
	v_mov_b32_e32 v11, 0
	v_cndmask_b32_e64 v12, v12, 1, vcc
	v_cmp_eq_u16_sdwa vcc, v2, v11 src0_sel:BYTE_0 src1_sel:DWORD
	v_cndmask_b32_e32 v8, 0, v8, vcc
	v_add_u32_e32 v1, v8, v1
	v_and_b32_e32 v8, 0xffff, v12
	s_movk_i32 s7, 0xff00
	v_and_or_b32 v11, v2, s7, v8
	v_mov_b32_e32 v2, v12
.LBB8_233:
	s_or_b64 exec, exec, s[34:35]
	v_mov_b32_dpp v11, v11 row_shr:2 row_mask:0xf bank_mask:0xf
	v_and_b32_e32 v12, 1, v2
	v_and_b32_e32 v11, 1, v11
	v_cmp_eq_u32_e32 vcc, 1, v12
	v_mov_b32_e32 v12, 0
	v_cndmask_b32_e64 v11, v11, 1, vcc
	v_cmp_eq_u16_sdwa s[34:35], v2, v12 src0_sel:BYTE_0 src1_sel:DWORD
	v_cmp_lt_u32_e32 vcc, 1, v7
	v_mov_b32_dpp v8, v1 row_shr:2 row_mask:0xf bank_mask:0xf
	v_cndmask_b32_e32 v2, v2, v11, vcc
	s_and_b64 vcc, vcc, s[34:35]
	v_cndmask_b32_e32 v7, 0, v8, vcc
	v_add_u32_e32 v1, v7, v1
	ds_write_b32 v6, v1
	ds_write_b8 v6, v2 offset:4
.LBB8_234:
	s_or_b64 exec, exec, s[28:29]
	v_cmp_gt_u32_e32 vcc, 64, v0
	v_cmp_lt_u32_e64 s[28:29], 63, v0
	v_mov_b32_e32 v15, 0
	v_mov_b32_e32 v16, 0
	s_waitcnt lgkmcnt(0)
	s_barrier
	s_and_saveexec_b64 s[34:35], s[28:29]
	s_cbranch_execz .LBB8_236
; %bb.235:
	v_add_u32_e32 v1, -8, v5
	ds_read_b32 v15, v1
	v_add_u32_e32 v1, -4, v5
	ds_read_u8 v16, v1
	v_and_b32_e32 v2, 1, v3
	v_cmp_eq_u32_e64 s[28:29], 0, v3
	s_waitcnt lgkmcnt(1)
	v_cndmask_b32_e64 v1, 0, v15, s[28:29]
	v_cmp_eq_u32_e64 s[28:29], 1, v2
	v_add_u32_e32 v4, v1, v4
	s_waitcnt lgkmcnt(0)
	v_cndmask_b32_e64 v3, v16, 1, s[28:29]
.LBB8_236:
	s_or_b64 exec, exec, s[34:35]
	v_subrev_co_u32_e64 v1, s[28:29], 1, v14
	v_and_b32_e32 v2, 64, v14
	v_cmp_lt_i32_e64 s[34:35], v1, v2
	v_cndmask_b32_e64 v1, v1, v14, s[34:35]
	v_lshlrev_b32_e32 v1, 2, v1
	ds_bpermute_b32 v22, v1, v4
	ds_bpermute_b32 v23, v1, v3
	s_and_saveexec_b64 s[42:43], vcc
	s_cbranch_execz .LBB8_256
; %bb.237:
	v_mov_b32_e32 v4, 0
	ds_read_b64 v[1:2], v4 offset:24
	s_and_saveexec_b64 s[34:35], s[28:29]
	s_cbranch_execz .LBB8_239
; %bb.238:
	s_add_i32 s44, s6, 64
	s_mov_b32 s45, 0
	s_lshl_b64 s[44:45], s[44:45], 4
	s_add_u32 s44, s52, s44
	s_addc_u32 s45, s53, s45
	v_mov_b32_e32 v5, s44
	v_mov_b32_e32 v3, 1
	v_mov_b32_e32 v6, s45
	s_waitcnt lgkmcnt(0)
	;;#ASMSTART
	global_store_dwordx4 v[5:6], v[1:4] off	
s_waitcnt vmcnt(0)
	;;#ASMEND
.LBB8_239:
	s_or_b64 exec, exec, s[34:35]
	v_xad_u32 v11, v14, -1, s6
	v_add_u32_e32 v3, 64, v11
	v_lshlrev_b64 v[5:6], 4, v[3:4]
	v_mov_b32_e32 v3, s53
	v_add_co_u32_e32 v12, vcc, s52, v5
	v_addc_co_u32_e32 v13, vcc, v3, v6, vcc
	;;#ASMSTART
	global_load_dwordx4 v[5:8], v[12:13] off glc	
s_waitcnt vmcnt(0)
	;;#ASMEND
	v_and_b32_e32 v6, 0xff, v6
	v_cmp_eq_u16_sdwa s[44:45], v7, v4 src0_sel:BYTE_0 src1_sel:DWORD
	s_and_saveexec_b64 s[34:35], s[44:45]
	s_cbranch_execz .LBB8_243
; %bb.240:
	s_mov_b64 s[44:45], 0
	v_mov_b32_e32 v3, 0
.LBB8_241:                              ; =>This Inner Loop Header: Depth=1
	;;#ASMSTART
	global_load_dwordx4 v[5:8], v[12:13] off glc	
s_waitcnt vmcnt(0)
	;;#ASMEND
	v_cmp_ne_u16_sdwa s[46:47], v7, v3 src0_sel:BYTE_0 src1_sel:DWORD
	s_or_b64 s[44:45], s[46:47], s[44:45]
	s_andn2_b64 exec, exec, s[44:45]
	s_cbranch_execnz .LBB8_241
; %bb.242:
	s_or_b64 exec, exec, s[44:45]
	v_and_b32_e32 v6, 0xff, v6
.LBB8_243:
	s_or_b64 exec, exec, s[34:35]
	v_mov_b32_e32 v24, 2
	v_lshlrev_b64 v[3:4], v14, -1
	v_cmp_eq_u16_sdwa s[34:35], v7, v24 src0_sel:BYTE_0 src1_sel:DWORD
	v_and_b32_e32 v8, s35, v4
	v_or_b32_e32 v8, 0x80000000, v8
	v_and_b32_e32 v12, s34, v3
	v_ffbl_b32_e32 v8, v8
	v_and_b32_e32 v25, 63, v14
	v_add_u32_e32 v8, 32, v8
	v_ffbl_b32_e32 v12, v12
	v_cmp_ne_u32_e32 vcc, 63, v25
	v_min_u32_e32 v8, v12, v8
	v_addc_co_u32_e32 v12, vcc, 0, v14, vcc
	v_lshlrev_b32_e32 v26, 2, v12
	ds_bpermute_b32 v12, v26, v6
	s_mov_b32 s44, 0
	ds_bpermute_b32 v13, v26, v5
	v_and_b32_e32 v27, 1, v6
	s_mov_b32 s45, 1
	s_waitcnt lgkmcnt(1)
	v_and_b32_e32 v12, 1, v12
	v_cmp_eq_u32_e32 vcc, 1, v27
	v_cndmask_b32_e64 v12, v12, 1, vcc
	v_cmp_gt_u64_e32 vcc, s[44:45], v[5:6]
	v_cmp_lt_u32_e64 s[34:35], v25, v8
	s_and_b64 vcc, s[34:35], vcc
	v_and_b32_e32 v27, 0xffff, v12
	v_cndmask_b32_e64 v55, v6, v12, s[34:35]
	s_waitcnt lgkmcnt(0)
	v_cndmask_b32_e32 v12, 0, v13, vcc
	v_cmp_gt_u32_e32 vcc, 62, v25
	v_cndmask_b32_e64 v13, 0, 2, vcc
	v_cndmask_b32_e64 v6, v6, v27, s[34:35]
	v_add_lshl_u32 v27, v13, v14, 2
	ds_bpermute_b32 v13, v27, v6
	v_add_u32_e32 v5, v12, v5
	ds_bpermute_b32 v56, v27, v5
	v_and_b32_e32 v12, 1, v55
	v_cmp_eq_u32_e32 vcc, 1, v12
	s_waitcnt lgkmcnt(1)
	v_and_b32_e32 v13, 1, v13
	v_mov_b32_e32 v12, 0
	v_add_u32_e32 v28, 2, v25
	v_cndmask_b32_e64 v13, v13, 1, vcc
	v_cmp_eq_u16_sdwa vcc, v55, v12 src0_sel:BYTE_0 src1_sel:DWORD
	v_and_b32_e32 v57, 0xffff, v13
	s_waitcnt lgkmcnt(0)
	v_cndmask_b32_e32 v56, 0, v56, vcc
	v_cmp_gt_u32_e32 vcc, v28, v8
	v_cndmask_b32_e32 v13, v13, v55, vcc
	v_cndmask_b32_e64 v56, v56, 0, vcc
	v_cndmask_b32_e32 v6, v57, v6, vcc
	v_cmp_gt_u32_e32 vcc, 60, v25
	v_cndmask_b32_e64 v55, 0, 4, vcc
	v_add_lshl_u32 v55, v55, v14, 2
	ds_bpermute_b32 v57, v55, v6
	v_add_u32_e32 v5, v56, v5
	ds_bpermute_b32 v58, v55, v5
	v_and_b32_e32 v59, 1, v13
	v_cmp_eq_u32_e32 vcc, 1, v59
	s_waitcnt lgkmcnt(1)
	v_and_b32_e32 v57, 1, v57
	v_add_u32_e32 v56, 4, v25
	v_cndmask_b32_e64 v57, v57, 1, vcc
	v_cmp_eq_u16_sdwa vcc, v13, v12 src0_sel:BYTE_0 src1_sel:DWORD
	v_and_b32_e32 v59, 0xffff, v57
	s_waitcnt lgkmcnt(0)
	v_cndmask_b32_e32 v58, 0, v58, vcc
	v_cmp_gt_u32_e32 vcc, v56, v8
	v_cndmask_b32_e32 v13, v57, v13, vcc
	v_cndmask_b32_e64 v58, v58, 0, vcc
	v_cndmask_b32_e32 v6, v59, v6, vcc
	v_cmp_gt_u32_e32 vcc, 56, v25
	v_cndmask_b32_e64 v57, 0, 8, vcc
	v_add_lshl_u32 v57, v57, v14, 2
	ds_bpermute_b32 v59, v57, v6
	v_add_u32_e32 v5, v58, v5
	ds_bpermute_b32 v60, v57, v5
	v_and_b32_e32 v61, 1, v13
	v_cmp_eq_u32_e32 vcc, 1, v61
	s_waitcnt lgkmcnt(1)
	v_and_b32_e32 v59, 1, v59
	;; [unrolled: 20-line block ×3, first 2 shown]
	v_add_u32_e32 v62, 16, v25
	v_cndmask_b32_e64 v61, v61, 1, vcc
	v_cmp_eq_u16_sdwa vcc, v13, v12 src0_sel:BYTE_0 src1_sel:DWORD
	s_waitcnt lgkmcnt(0)
	v_cndmask_b32_e32 v60, 0, v60, vcc
	v_cmp_gt_u32_e32 vcc, v62, v8
	v_and_b32_e32 v63, 0xffff, v61
	v_cndmask_b32_e32 v13, v61, v13, vcc
	v_mov_b32_e32 v61, 0x80
	v_cndmask_b32_e32 v6, v63, v6, vcc
	v_lshl_or_b32 v63, v14, 2, v61
	v_cndmask_b32_e64 v60, v60, 0, vcc
	ds_bpermute_b32 v6, v63, v6
	v_add_u32_e32 v5, v60, v5
	ds_bpermute_b32 v14, v63, v5
	v_and_b32_e32 v60, 1, v13
	v_cmp_eq_u32_e32 vcc, 1, v60
	s_waitcnt lgkmcnt(1)
	v_and_b32_e32 v6, 1, v6
	v_add_u32_e32 v64, 32, v25
	v_cndmask_b32_e64 v6, v6, 1, vcc
	v_cmp_eq_u16_sdwa vcc, v13, v12 src0_sel:BYTE_0 src1_sel:DWORD
	s_waitcnt lgkmcnt(0)
	v_cndmask_b32_e32 v14, 0, v14, vcc
	v_cmp_gt_u32_e32 vcc, v64, v8
	v_cndmask_b32_e64 v8, v14, 0, vcc
	v_cndmask_b32_e32 v6, v6, v13, vcc
	v_add_u32_e32 v5, v8, v5
	s_branch .LBB8_247
.LBB8_244:                              ;   in Loop: Header=BB8_247 Depth=1
	s_or_b64 exec, exec, s[46:47]
	v_and_b32_e32 v6, 0xff, v6
.LBB8_245:                              ;   in Loop: Header=BB8_247 Depth=1
	s_or_b64 exec, exec, s[34:35]
	v_cmp_eq_u16_sdwa s[34:35], v7, v24 src0_sel:BYTE_0 src1_sel:DWORD
	v_and_b32_e32 v8, s35, v4
	ds_bpermute_b32 v14, v26, v6
	v_or_b32_e32 v8, 0x80000000, v8
	v_and_b32_e32 v13, s34, v3
	v_ffbl_b32_e32 v8, v8
	v_add_u32_e32 v8, 32, v8
	v_ffbl_b32_e32 v13, v13
	v_min_u32_e32 v8, v13, v8
	ds_bpermute_b32 v13, v26, v5
	v_and_b32_e32 v65, 1, v6
	s_waitcnt lgkmcnt(1)
	v_and_b32_e32 v14, 1, v14
	v_cmp_eq_u32_e32 vcc, 1, v65
	v_cndmask_b32_e64 v14, v14, 1, vcc
	v_cmp_gt_u64_e32 vcc, s[44:45], v[5:6]
	v_and_b32_e32 v65, 0xffff, v14
	v_cmp_lt_u32_e64 s[34:35], v25, v8
	v_cndmask_b32_e64 v14, v6, v14, s[34:35]
	v_cndmask_b32_e64 v6, v6, v65, s[34:35]
	s_and_b64 vcc, s[34:35], vcc
	ds_bpermute_b32 v65, v27, v6
	s_waitcnt lgkmcnt(1)
	v_cndmask_b32_e32 v13, 0, v13, vcc
	v_add_u32_e32 v5, v13, v5
	ds_bpermute_b32 v13, v27, v5
	v_and_b32_e32 v66, 1, v14
	s_waitcnt lgkmcnt(1)
	v_and_b32_e32 v65, 1, v65
	v_cmp_eq_u32_e32 vcc, 1, v66
	v_cndmask_b32_e64 v65, v65, 1, vcc
	v_cmp_eq_u16_sdwa vcc, v14, v12 src0_sel:BYTE_0 src1_sel:DWORD
	v_and_b32_e32 v66, 0xffff, v65
	s_waitcnt lgkmcnt(0)
	v_cndmask_b32_e32 v13, 0, v13, vcc
	v_cmp_gt_u32_e32 vcc, v28, v8
	v_cndmask_b32_e32 v6, v66, v6, vcc
	v_cndmask_b32_e32 v14, v65, v14, vcc
	ds_bpermute_b32 v65, v55, v6
	v_cndmask_b32_e64 v13, v13, 0, vcc
	v_add_u32_e32 v5, v13, v5
	ds_bpermute_b32 v13, v55, v5
	v_and_b32_e32 v66, 1, v14
	s_waitcnt lgkmcnt(1)
	v_and_b32_e32 v65, 1, v65
	v_cmp_eq_u32_e32 vcc, 1, v66
	v_cndmask_b32_e64 v65, v65, 1, vcc
	v_cmp_eq_u16_sdwa vcc, v14, v12 src0_sel:BYTE_0 src1_sel:DWORD
	v_and_b32_e32 v66, 0xffff, v65
	s_waitcnt lgkmcnt(0)
	v_cndmask_b32_e32 v13, 0, v13, vcc
	v_cmp_gt_u32_e32 vcc, v56, v8
	v_cndmask_b32_e32 v6, v66, v6, vcc
	v_cndmask_b32_e32 v14, v65, v14, vcc
	ds_bpermute_b32 v65, v57, v6
	v_cndmask_b32_e64 v13, v13, 0, vcc
	;; [unrolled: 16-line block ×3, first 2 shown]
	v_add_u32_e32 v5, v13, v5
	ds_bpermute_b32 v13, v59, v5
	v_and_b32_e32 v66, 1, v14
	s_waitcnt lgkmcnt(1)
	v_and_b32_e32 v65, 1, v65
	v_cmp_eq_u32_e32 vcc, 1, v66
	v_cndmask_b32_e64 v65, v65, 1, vcc
	v_cmp_eq_u16_sdwa vcc, v14, v12 src0_sel:BYTE_0 src1_sel:DWORD
	v_and_b32_e32 v66, 0xffff, v65
	s_waitcnt lgkmcnt(0)
	v_cndmask_b32_e32 v13, 0, v13, vcc
	v_cmp_gt_u32_e32 vcc, v62, v8
	v_cndmask_b32_e64 v13, v13, 0, vcc
	v_cndmask_b32_e32 v6, v66, v6, vcc
	ds_bpermute_b32 v6, v63, v6
	v_add_u32_e32 v5, v13, v5
	ds_bpermute_b32 v13, v63, v5
	v_cndmask_b32_e32 v14, v65, v14, vcc
	v_and_b32_e32 v65, 1, v14
	v_cmp_eq_u32_e32 vcc, 1, v65
	s_waitcnt lgkmcnt(1)
	v_cndmask_b32_e64 v6, v6, 1, vcc
	v_cmp_eq_u16_sdwa vcc, v14, v12 src0_sel:BYTE_0 src1_sel:DWORD
	s_waitcnt lgkmcnt(0)
	v_cndmask_b32_e32 v13, 0, v13, vcc
	v_cmp_gt_u32_e32 vcc, v64, v8
	v_cndmask_b32_e64 v8, v13, 0, vcc
	v_cndmask_b32_e32 v6, v6, v14, vcc
	v_add_u32_e32 v5, v8, v5
	v_cmp_eq_u16_sdwa vcc, v60, v12 src0_sel:BYTE_0 src1_sel:DWORD
	v_and_b32_e32 v8, 1, v60
	v_cndmask_b32_e32 v5, 0, v5, vcc
	v_and_b32_e32 v6, 1, v6
	v_cmp_eq_u32_e32 vcc, 1, v8
	v_subrev_u32_e32 v11, 64, v11
	v_add_u32_e32 v5, v5, v61
	v_cndmask_b32_e64 v6, v6, 1, vcc
	s_mov_b64 s[34:35], 0
.LBB8_246:                              ;   in Loop: Header=BB8_247 Depth=1
	s_and_b64 vcc, exec, s[34:35]
	s_cbranch_vccnz .LBB8_252
.LBB8_247:                              ; =>This Loop Header: Depth=1
                                        ;     Child Loop BB8_250 Depth 2
	v_cmp_ne_u16_sdwa s[34:35], v7, v24 src0_sel:BYTE_0 src1_sel:DWORD
	v_mov_b32_e32 v60, v6
	v_mov_b32_e32 v61, v5
	s_cmp_lg_u64 s[34:35], exec
	s_mov_b64 s[34:35], -1
                                        ; implicit-def: $vgpr6
                                        ; implicit-def: $vgpr5
                                        ; implicit-def: $vgpr7
	s_cbranch_scc1 .LBB8_246
; %bb.248:                              ;   in Loop: Header=BB8_247 Depth=1
	v_lshlrev_b64 v[5:6], 4, v[11:12]
	v_mov_b32_e32 v7, s53
	v_add_co_u32_e32 v13, vcc, s52, v5
	v_addc_co_u32_e32 v14, vcc, v7, v6, vcc
	;;#ASMSTART
	global_load_dwordx4 v[5:8], v[13:14] off glc	
s_waitcnt vmcnt(0)
	;;#ASMEND
	v_and_b32_e32 v6, 0xff, v6
	v_cmp_eq_u16_sdwa s[46:47], v7, v12 src0_sel:BYTE_0 src1_sel:DWORD
	s_and_saveexec_b64 s[34:35], s[46:47]
	s_cbranch_execz .LBB8_245
; %bb.249:                              ;   in Loop: Header=BB8_247 Depth=1
	s_mov_b64 s[46:47], 0
.LBB8_250:                              ;   Parent Loop BB8_247 Depth=1
                                        ; =>  This Inner Loop Header: Depth=2
	;;#ASMSTART
	global_load_dwordx4 v[5:8], v[13:14] off glc	
s_waitcnt vmcnt(0)
	;;#ASMEND
	v_cmp_ne_u16_sdwa s[48:49], v7, v12 src0_sel:BYTE_0 src1_sel:DWORD
	s_or_b64 s[46:47], s[48:49], s[46:47]
	s_andn2_b64 exec, exec, s[46:47]
	s_cbranch_execnz .LBB8_250
	s_branch .LBB8_244
.LBB8_251:
                                        ; implicit-def: $vgpr1
                                        ; implicit-def: $vgpr3
                                        ; implicit-def: $vgpr11
                                        ; implicit-def: $vgpr15
                                        ; implicit-def: $vgpr13_vgpr14
                                        ; implicit-def: $vgpr7_vgpr8
                                        ; implicit-def: $vgpr5_vgpr6
	s_cbranch_execnz .LBB8_257
	s_branch .LBB8_272
.LBB8_252:
	s_and_saveexec_b64 s[34:35], s[28:29]
	s_cbranch_execz .LBB8_254
; %bb.253:
	s_mov_b32 s7, 0
	v_mov_b32_e32 v4, 0
	s_add_i32 s6, s6, 64
	v_cmp_eq_u32_sdwa vcc, v2, v4 src0_sel:BYTE_0 src1_sel:DWORD
	s_lshl_b64 s[6:7], s[6:7], 4
	v_cndmask_b32_e32 v3, 0, v61, vcc
	v_and_b32_e32 v2, 1, v2
	s_add_u32 s6, s52, s6
	v_add_u32_e32 v1, v3, v1
	s_addc_u32 s7, s53, s7
	v_and_b32_e32 v3, 1, v60
	v_cmp_eq_u32_e32 vcc, 1, v2
	v_mov_b32_e32 v5, s6
	v_cndmask_b32_e64 v2, v3, 1, vcc
	v_mov_b32_e32 v3, 2
	v_mov_b32_e32 v6, s7
	;;#ASMSTART
	global_store_dwordx4 v[5:6], v[1:4] off	
s_waitcnt vmcnt(0)
	;;#ASMEND
.LBB8_254:
	s_or_b64 exec, exec, s[34:35]
	v_cmp_eq_u32_e32 vcc, 0, v0
	s_and_b64 exec, exec, vcc
	s_cbranch_execz .LBB8_256
; %bb.255:
	v_mov_b32_e32 v1, 0
	ds_write_b32 v1, v61 offset:24
	ds_write_b8 v1, v60 offset:28
.LBB8_256:
	s_or_b64 exec, exec, s[42:43]
	s_mov_b32 s6, 0
	s_mov_b32 s7, 1
	v_mov_b32_e32 v3, 0
	v_cmp_gt_u64_e32 vcc, s[6:7], v[29:30]
	s_waitcnt lgkmcnt(0)
	v_cndmask_b32_e64 v1, v23, v16, s[28:29]
	v_cndmask_b32_e64 v2, v22, v15, s[28:29]
	s_barrier
	ds_read_b32 v4, v3 offset:24
	v_and_b32_e32 v5, 1, v30
	v_cndmask_b32_e32 v2, 0, v2, vcc
	v_and_b32_e32 v1, 1, v1
	v_cmp_eq_u32_e32 vcc, 1, v5
	v_cndmask_b32_e64 v1, v1, 1, vcc
	v_cmp_eq_u32_e32 vcc, 0, v0
	v_cndmask_b32_e32 v1, v1, v30, vcc
	v_cndmask_b32_e64 v2, v2, 0, vcc
	v_cmp_eq_u16_sdwa vcc, v1, v3 src0_sel:BYTE_0 src1_sel:DWORD
	s_waitcnt lgkmcnt(0)
	v_cndmask_b32_e32 v1, 0, v4, vcc
	v_add3_u32 v1, v2, v29, v1
	v_cndmask_b32_e64 v2, 0, v1, s[2:3]
	v_add_u32_e32 v2, v2, v53
	v_cndmask_b32_e64 v3, 0, v2, s[4:5]
	v_add_u32_e32 v5, v3, v51
	;; [unrolled: 2-line block ×13, first 2 shown]
	s_branch .LBB8_272
.LBB8_257:
	s_cmp_lg_u64 s[58:59], 0
	s_cselect_b64 s[2:3], -1, 0
	s_cmp_lg_u64 s[38:39], 0
	s_cselect_b64 s[4:5], -1, 0
	s_and_b64 s[4:5], s[2:3], s[4:5]
	v_cmp_eq_u32_e32 vcc, 0, v0
	s_mov_b32 s28, 0
	v_cmp_ne_u32_e64 s[2:3], 0, v0
	s_and_b64 s[4:5], vcc, s[4:5]
	s_and_saveexec_b64 s[6:7], s[4:5]
	s_cbranch_execz .LBB8_259
; %bb.258:
	v_mov_b32_e32 v1, 0
	global_load_dword v3, v1, s[38:39]
	global_load_ubyte v4, v1, s[38:39] offset:4
	s_mov_b32 s29, 1
	v_cmp_gt_u64_e64 s[4:5], s[28:29], v[29:30]
	v_and_b32_e32 v2, 1, v30
	s_waitcnt vmcnt(1)
	v_cndmask_b32_e64 v3, 0, v3, s[4:5]
	v_cmp_eq_u64_e64 s[4:5], 0, v[1:2]
	s_waitcnt vmcnt(0)
	v_and_b32_e32 v4, 1, v4
	v_add_u32_e32 v29, v3, v29
	v_cndmask_b32_e64 v30, 1, v4, s[4:5]
.LBB8_259:
	s_or_b64 exec, exec, s[6:7]
	s_mov_b32 s29, 1
	v_cmp_gt_u64_e64 s[4:5], s[28:29], v[53:54]
	v_cmp_gt_u64_e64 s[6:7], s[28:29], v[51:52]
	v_cndmask_b32_e64 v1, 0, v29, s[4:5]
	v_add_u32_e32 v2, v1, v53
	v_cndmask_b32_e64 v1, 0, v2, s[6:7]
	v_cmp_gt_u64_e64 s[8:9], s[28:29], v[49:50]
	v_add_u32_e32 v5, v1, v51
	v_cndmask_b32_e64 v1, 0, v5, s[8:9]
	v_cmp_gt_u64_e64 s[10:11], s[28:29], v[47:48]
	;; [unrolled: 3-line block ×8, first 2 shown]
	v_add_u32_e32 v12, v12, v37
	v_or3_b32 v1, v21, v44, v46
	v_cndmask_b32_e64 v13, 0, v12, s[22:23]
	v_cmp_gt_u64_e64 s[24:25], s[28:29], v[33:34]
	v_or3_b32 v1, v1, v48, v50
	v_add_u32_e32 v13, v13, v35
	v_or3_b32 v1, v1, v52, v54
	v_cndmask_b32_e64 v14, 0, v13, s[24:25]
	v_cmp_gt_u64_e64 s[26:27], s[28:29], v[31:32]
	v_or3_b32 v20, v20, v36, v38
	v_add_u32_e32 v14, v14, v33
	v_or3_b32 v1, v10, v20, v1
	v_cndmask_b32_e64 v15, 0, v14, s[26:27]
	v_cmp_gt_u64_e64 s[28:29], s[28:29], v[9:10]
	v_and_b32_e32 v21, 0xff, v1
	v_mov_b32_e32 v20, 0
	v_add_u32_e32 v15, v15, v31
	v_cmp_eq_u64_e64 s[30:31], 0, v[20:21]
	v_cndmask_b32_e64 v16, 0, v15, s[28:29]
	v_add_u32_e32 v16, v16, v9
	v_cndmask_b32_e64 v10, 1, v30, s[30:31]
	v_mbcnt_hi_u32_b32 v1, -1, v18
	v_mov_b32_dpp v20, v16 row_shr:1 row_mask:0xf bank_mask:0xf
	v_mov_b32_dpp v21, v10 row_shr:1 row_mask:0xf bank_mask:0xf
	v_cmp_eq_u32_e64 s[30:31], 0, v10
	v_and_b32_e32 v22, 1, v10
	v_and_b32_e32 v18, 15, v1
	v_cndmask_b32_e64 v20, 0, v20, s[30:31]
	v_and_b32_e32 v21, 1, v21
	v_cmp_eq_u32_e64 s[30:31], 1, v22
	v_cndmask_b32_e64 v21, v21, 1, s[30:31]
	v_cmp_eq_u32_e64 s[30:31], 0, v18
	v_cndmask_b32_e64 v10, v21, v10, s[30:31]
	v_and_b32_e32 v23, 1, v10
	v_cmp_eq_u32_e64 s[34:35], 1, v23
	v_mov_b32_dpp v22, v10 row_shr:2 row_mask:0xf bank_mask:0xf
	v_and_b32_e32 v22, 1, v22
	v_cndmask_b32_e64 v22, v22, 1, s[34:35]
	v_cmp_lt_u32_e64 s[34:35], 1, v18
	v_cndmask_b32_e64 v20, v20, 0, s[30:31]
	v_cmp_eq_u32_e64 s[30:31], 0, v10
	v_cndmask_b32_e64 v10, v10, v22, s[34:35]
	v_add_u32_e32 v20, v16, v20
	v_and_b32_e32 v23, 1, v10
	v_mov_b32_dpp v22, v10 row_shr:4 row_mask:0xf bank_mask:0xf
	v_mov_b32_dpp v21, v20 row_shr:2 row_mask:0xf bank_mask:0xf
	s_and_b64 s[30:31], s[34:35], s[30:31]
	v_and_b32_e32 v22, 1, v22
	v_cmp_eq_u32_e64 s[34:35], 1, v23
	v_cndmask_b32_e64 v21, 0, v21, s[30:31]
	v_cndmask_b32_e64 v22, v22, 1, s[34:35]
	v_cmp_lt_u32_e64 s[34:35], 3, v18
	v_add_u32_e32 v20, v20, v21
	v_cmp_eq_u32_e64 s[30:31], 0, v10
	v_cndmask_b32_e64 v10, v10, v22, s[34:35]
	v_mov_b32_dpp v21, v20 row_shr:4 row_mask:0xf bank_mask:0xf
	s_and_b64 s[30:31], s[34:35], s[30:31]
	v_mov_b32_dpp v22, v10 row_shr:8 row_mask:0xf bank_mask:0xf
	v_and_b32_e32 v23, 1, v10
	v_cndmask_b32_e64 v21, 0, v21, s[30:31]
	v_and_b32_e32 v22, 1, v22
	v_cmp_eq_u32_e64 s[34:35], 1, v23
	v_add_u32_e32 v20, v20, v21
	v_cmp_eq_u32_e64 s[30:31], 0, v10
	v_cndmask_b32_e64 v22, v22, 1, s[34:35]
	v_cmp_lt_u32_e64 s[34:35], 7, v18
	v_mov_b32_dpp v21, v20 row_shr:8 row_mask:0xf bank_mask:0xf
	s_and_b64 s[30:31], s[34:35], s[30:31]
	v_cndmask_b32_e64 v18, 0, v21, s[30:31]
	v_cndmask_b32_e64 v10, v10, v22, s[34:35]
	v_add_u32_e32 v18, v20, v18
	v_cmp_eq_u32_e64 s[30:31], 0, v10
	v_mov_b32_dpp v21, v10 row_bcast:15 row_mask:0xf bank_mask:0xf
	v_mov_b32_dpp v20, v18 row_bcast:15 row_mask:0xf bank_mask:0xf
	v_and_b32_e32 v24, 1, v10
	v_and_b32_e32 v23, 16, v1
	v_cndmask_b32_e64 v20, 0, v20, s[30:31]
	v_and_b32_e32 v21, 1, v21
	v_cmp_eq_u32_e64 s[30:31], 1, v24
	v_bfe_i32 v22, v1, 4, 1
	v_cndmask_b32_e64 v21, v21, 1, s[30:31]
	v_cmp_eq_u32_e64 s[30:31], 0, v23
	v_cndmask_b32_e64 v10, v21, v10, s[30:31]
	v_and_b32_e32 v20, v22, v20
	v_add_u32_e32 v18, v18, v20
	v_and_b32_e32 v22, 1, v10
	v_mov_b32_dpp v20, v10 row_bcast:31 row_mask:0xf bank_mask:0xf
	v_and_b32_e32 v20, 1, v20
	v_cmp_eq_u32_e64 s[34:35], 1, v22
	v_cmp_eq_u32_e64 s[30:31], 0, v10
	v_cndmask_b32_e64 v20, v20, 1, s[34:35]
	v_cmp_lt_u32_e64 s[34:35], 31, v1
	v_mov_b32_dpp v21, v18 row_bcast:31 row_mask:0xf bank_mask:0xf
	s_and_b64 s[30:31], s[34:35], s[30:31]
	v_cndmask_b32_e64 v20, v10, v20, s[34:35]
	v_cndmask_b32_e64 v10, 0, v21, s[30:31]
	v_add_u32_e32 v10, v18, v10
	v_cmp_eq_u32_e64 s[30:31], v0, v17
	s_and_saveexec_b64 s[34:35], s[30:31]
	s_cbranch_execz .LBB8_261
; %bb.260:
	v_lshlrev_b32_e32 v17, 3, v19
	ds_write_b32 v17, v10
	ds_write_b8 v17, v20 offset:4
.LBB8_261:
	s_or_b64 exec, exec, s[34:35]
	v_cmp_gt_u32_e64 s[30:31], 4, v0
	s_waitcnt lgkmcnt(0)
	s_barrier
	s_and_saveexec_b64 s[34:35], s[30:31]
	s_cbranch_execz .LBB8_265
; %bb.262:
	v_lshlrev_b32_e32 v21, 3, v0
	ds_read_b64 v[17:18], v21
	v_and_b32_e32 v22, 3, v1
	v_cmp_ne_u32_e64 s[30:31], 0, v22
	s_waitcnt lgkmcnt(0)
	v_mov_b32_dpp v23, v17 row_shr:1 row_mask:0xf bank_mask:0xf
	v_mov_b32_dpp v25, v18 row_shr:1 row_mask:0xf bank_mask:0xf
	v_mov_b32_e32 v24, v18
	s_and_saveexec_b64 s[38:39], s[30:31]
	s_cbranch_execz .LBB8_264
; %bb.263:
	v_and_b32_e32 v24, 1, v18
	v_and_b32_e32 v25, 1, v25
	v_cmp_eq_u32_e64 s[30:31], 1, v24
	v_mov_b32_e32 v24, 0
	v_cndmask_b32_e64 v25, v25, 1, s[30:31]
	v_cmp_eq_u16_sdwa s[30:31], v18, v24 src0_sel:BYTE_0 src1_sel:DWORD
	v_cndmask_b32_e64 v23, 0, v23, s[30:31]
	v_add_u32_e32 v17, v23, v17
	v_and_b32_e32 v23, 0xffff, v25
	s_movk_i32 s30, 0xff00
	v_and_or_b32 v24, v18, s30, v23
	v_mov_b32_e32 v18, v25
.LBB8_264:
	s_or_b64 exec, exec, s[38:39]
	v_mov_b32_dpp v24, v24 row_shr:2 row_mask:0xf bank_mask:0xf
	v_and_b32_e32 v25, 1, v18
	v_and_b32_e32 v24, 1, v24
	v_cmp_eq_u32_e64 s[30:31], 1, v25
	v_mov_b32_e32 v25, 0
	v_cndmask_b32_e64 v24, v24, 1, s[30:31]
	v_cmp_eq_u16_sdwa s[38:39], v18, v25 src0_sel:BYTE_0 src1_sel:DWORD
	v_cmp_lt_u32_e64 s[30:31], 1, v22
	v_mov_b32_dpp v23, v17 row_shr:2 row_mask:0xf bank_mask:0xf
	v_cndmask_b32_e64 v18, v18, v24, s[30:31]
	s_and_b64 s[30:31], s[30:31], s[38:39]
	v_cndmask_b32_e64 v22, 0, v23, s[30:31]
	v_add_u32_e32 v17, v22, v17
	ds_write_b32 v21, v17
	ds_write_b8 v21, v18 offset:4
.LBB8_265:
	s_or_b64 exec, exec, s[34:35]
	v_cmp_lt_u32_e64 s[30:31], 63, v0
	v_mov_b32_e32 v17, 0
	s_waitcnt lgkmcnt(0)
	s_barrier
	s_and_saveexec_b64 s[34:35], s[30:31]
	s_cbranch_execz .LBB8_267
; %bb.266:
	v_lshl_add_u32 v17, v19, 3, -8
	ds_read_b32 v17, v17
	v_cmp_eq_u32_e64 s[30:31], 0, v20
	s_waitcnt lgkmcnt(0)
	v_cndmask_b32_e64 v18, 0, v17, s[30:31]
	v_add_u32_e32 v10, v18, v10
.LBB8_267:
	s_or_b64 exec, exec, s[34:35]
	v_add_u32_e32 v18, -1, v1
	v_and_b32_e32 v19, 64, v1
	v_cmp_lt_i32_e64 s[30:31], v18, v19
	v_cndmask_b32_e64 v18, v18, v1, s[30:31]
	v_lshlrev_b32_e32 v18, 2, v18
	ds_bpermute_b32 v10, v18, v10
	s_and_saveexec_b64 s[30:31], s[2:3]
	s_cbranch_execz .LBB8_269
; %bb.268:
	v_and_b32_e32 v3, 0xff, v30
	v_mov_b32_e32 v2, 0
	v_cmp_eq_u32_e64 s[2:3], 0, v1
	s_waitcnt lgkmcnt(0)
	v_cndmask_b32_e64 v1, v10, v17, s[2:3]
	v_cmp_eq_u64_e64 s[2:3], 0, v[2:3]
	;;#ASMSTART
	;;#ASMEND
	v_cndmask_b32_e64 v1, 0, v1, s[2:3]
	v_add_u32_e32 v29, v1, v29
	v_cndmask_b32_e64 v1, 0, v29, s[4:5]
	v_add_u32_e32 v2, v1, v53
	v_cndmask_b32_e64 v1, 0, v2, s[6:7]
	v_add_u32_e32 v5, v1, v51
	v_cndmask_b32_e64 v1, 0, v5, s[8:9]
	v_add_u32_e32 v6, v1, v49
	v_cndmask_b32_e64 v1, 0, v6, s[10:11]
	v_add_u32_e32 v3, v1, v47
	v_cndmask_b32_e64 v1, 0, v3, s[12:13]
	v_add_u32_e32 v4, v1, v45
	v_cndmask_b32_e64 v1, 0, v4, s[14:15]
	v_add_u32_e32 v7, v1, v43
	v_cndmask_b32_e64 v1, 0, v7, s[16:17]
	v_add_u32_e32 v8, v1, v41
	v_cndmask_b32_e64 v1, 0, v8, s[18:19]
	v_add_u32_e32 v11, v1, v39
	v_cndmask_b32_e64 v1, 0, v11, s[20:21]
	v_add_u32_e32 v12, v1, v37
	v_cndmask_b32_e64 v1, 0, v12, s[22:23]
	v_add_u32_e32 v13, v1, v35
	v_cndmask_b32_e64 v1, 0, v13, s[24:25]
	v_add_u32_e32 v14, v1, v33
	v_cndmask_b32_e64 v1, 0, v14, s[26:27]
	v_add_u32_e32 v15, v1, v31
	v_cndmask_b32_e64 v1, 0, v15, s[28:29]
	v_add_u32_e32 v16, v1, v9
.LBB8_269:
	s_or_b64 exec, exec, s[30:31]
	s_and_saveexec_b64 s[2:3], vcc
	s_cbranch_execz .LBB8_271
; %bb.270:
	v_mov_b32_e32 v20, 0
	ds_read_b32 v17, v20 offset:24
	ds_read_u8 v18, v20 offset:28
	s_add_u32 s4, s52, 0x400
	s_addc_u32 s5, s53, 0
	s_waitcnt lgkmcnt(2)
	v_mov_b32_e32 v10, s5
	v_mov_b32_e32 v19, 2
	;; [unrolled: 1-line block ×3, first 2 shown]
	s_waitcnt lgkmcnt(0)
	;;#ASMSTART
	global_store_dwordx4 v[9:10], v[17:20] off	
s_waitcnt vmcnt(0)
	;;#ASMEND
.LBB8_271:
	s_or_b64 exec, exec, s[2:3]
	v_mov_b32_e32 v1, v29
.LBB8_272:
	s_add_u32 s2, s36, s56
	s_addc_u32 s3, s37, s57
	s_add_u32 s22, s2, s40
	s_addc_u32 s23, s3, s41
	s_and_b64 vcc, exec, s[0:1]
	s_cbranch_vccz .LBB8_320
; %bb.273:
	s_add_i32 s33, s33, s54
	v_mul_u32_u24_e32 v9, 14, v0
	v_cmp_gt_u32_e32 vcc, s33, v9
	s_and_saveexec_b64 s[0:1], vcc
	s_cbranch_execz .LBB8_293
; %bb.274:
	s_waitcnt lgkmcnt(0)
	v_or_b32_e32 v10, 1, v9
	v_cmp_gt_u32_e32 vcc, s33, v10
	s_and_saveexec_b64 s[2:3], vcc
	s_cbranch_execz .LBB8_292
; %bb.275:
	v_add_u32_e32 v10, 2, v9
	v_cmp_gt_u32_e32 vcc, s33, v10
	s_and_saveexec_b64 s[4:5], vcc
	s_cbranch_execz .LBB8_291
; %bb.276:
	v_add_u32_e32 v10, 3, v9
	;; [unrolled: 5-line block ×8, first 2 shown]
	v_cmp_gt_u32_e32 vcc, s33, v10
	s_and_saveexec_b64 s[18:19], vcc
; %bb.283:
	v_add_u32_e32 v10, 10, v9
	v_cmp_gt_u32_e32 vcc, s33, v10
	s_and_saveexec_b64 s[20:21], vcc
	s_or_b64 exec, exec, s[20:21]
; %bb.284:
	s_or_b64 exec, exec, s[18:19]
.LBB8_285:
	s_or_b64 exec, exec, s[16:17]
.LBB8_286:
	s_or_b64 exec, exec, s[14:15]
.LBB8_287:
	s_or_b64 exec, exec, s[12:13]
.LBB8_288:
	s_or_b64 exec, exec, s[10:11]
.LBB8_289:
	s_or_b64 exec, exec, s[8:9]
.LBB8_290:
	s_or_b64 exec, exec, s[6:7]
.LBB8_291:
	s_or_b64 exec, exec, s[4:5]
.LBB8_292:
	s_or_b64 exec, exec, s[2:3]
.LBB8_293:
	s_or_b64 exec, exec, s[0:1]
	s_waitcnt lgkmcnt(0)
	v_lshlrev_b32_e32 v10, 2, v9
	s_movk_i32 s0, 0xffcc
	v_mad_i32_i24 v9, v0, s0, v10
	s_barrier
	ds_write2_b64 v10, v[1:2], v[5:6] offset1:1
	ds_write2_b64 v10, v[3:4], v[7:8] offset0:2 offset1:3
	ds_write2_b64 v10, v[11:12], v[13:14] offset0:4 offset1:5
	ds_write_b64 v10, v[15:16] offset:48
	s_waitcnt lgkmcnt(0)
	s_barrier
	ds_read2st64_b32 v[29:30], v9 offset0:4 offset1:8
	ds_read2st64_b32 v[27:28], v9 offset0:12 offset1:16
	;; [unrolled: 1-line block ×6, first 2 shown]
	ds_read_b32 v9, v9 offset:13312
	v_lshlrev_b32_e32 v19, 2, v0
	v_mov_b32_e32 v20, s23
	v_add_co_u32_e32 v19, vcc, s22, v19
	v_addc_co_u32_e32 v20, vcc, 0, v20, vcc
	v_cmp_gt_u32_e32 vcc, s33, v0
	s_and_saveexec_b64 s[0:1], vcc
	s_cbranch_execz .LBB8_295
; %bb.294:
	v_mul_i32_i24_e32 v31, 0xffffffcc, v0
	v_add_u32_e32 v10, v10, v31
	ds_read_b32 v10, v10
	s_waitcnt lgkmcnt(0)
	flat_store_dword v[19:20], v10
.LBB8_295:
	s_or_b64 exec, exec, s[0:1]
	v_or_b32_e32 v10, 0x100, v0
	v_cmp_gt_u32_e32 vcc, s33, v10
	s_and_saveexec_b64 s[0:1], vcc
	s_cbranch_execz .LBB8_297
; %bb.296:
	s_waitcnt lgkmcnt(0)
	flat_store_dword v[19:20], v29 offset:1024
.LBB8_297:
	s_or_b64 exec, exec, s[0:1]
	v_or_b32_e32 v10, 0x200, v0
	v_cmp_gt_u32_e32 vcc, s33, v10
	s_and_saveexec_b64 s[0:1], vcc
	s_cbranch_execz .LBB8_299
; %bb.298:
	s_waitcnt lgkmcnt(0)
	flat_store_dword v[19:20], v30 offset:2048
.LBB8_299:
	;; [unrolled: 9-line block ×3, first 2 shown]
	s_or_b64 exec, exec, s[0:1]
	v_or_b32_e32 v10, 0x400, v0
	v_cmp_gt_u32_e32 vcc, s33, v10
	s_and_saveexec_b64 s[0:1], vcc
	s_cbranch_execz .LBB8_303
; %bb.302:
	s_waitcnt lgkmcnt(0)
	v_add_co_u32_e32 v29, vcc, 0x1000, v19
	v_addc_co_u32_e32 v30, vcc, 0, v20, vcc
	flat_store_dword v[29:30], v28
.LBB8_303:
	s_or_b64 exec, exec, s[0:1]
	v_or_b32_e32 v10, 0x500, v0
	v_cmp_gt_u32_e32 vcc, s33, v10
	s_and_saveexec_b64 s[0:1], vcc
	s_cbranch_execz .LBB8_305
; %bb.304:
	s_waitcnt lgkmcnt(0)
	v_add_co_u32_e32 v27, vcc, 0x1000, v19
	v_addc_co_u32_e32 v28, vcc, 0, v20, vcc
	flat_store_dword v[27:28], v25 offset:1024
.LBB8_305:
	s_or_b64 exec, exec, s[0:1]
	v_or_b32_e32 v10, 0x600, v0
	v_cmp_gt_u32_e32 vcc, s33, v10
	s_and_saveexec_b64 s[0:1], vcc
	s_cbranch_execz .LBB8_307
; %bb.306:
	s_waitcnt lgkmcnt(0)
	v_add_co_u32_e32 v27, vcc, 0x1000, v19
	v_addc_co_u32_e32 v28, vcc, 0, v20, vcc
	flat_store_dword v[27:28], v26 offset:2048
.LBB8_307:
	;; [unrolled: 11-line block ×3, first 2 shown]
	s_or_b64 exec, exec, s[0:1]
	v_or_b32_e32 v10, 0x800, v0
	v_cmp_gt_u32_e32 vcc, s33, v10
	s_and_saveexec_b64 s[0:1], vcc
	s_cbranch_execz .LBB8_311
; %bb.310:
	s_waitcnt lgkmcnt(0)
	v_add_co_u32_e32 v25, vcc, 0x2000, v19
	v_addc_co_u32_e32 v26, vcc, 0, v20, vcc
	flat_store_dword v[25:26], v24
.LBB8_311:
	s_or_b64 exec, exec, s[0:1]
	v_or_b32_e32 v10, 0x900, v0
	v_cmp_gt_u32_e32 vcc, s33, v10
	s_and_saveexec_b64 s[0:1], vcc
	s_cbranch_execz .LBB8_313
; %bb.312:
	s_waitcnt lgkmcnt(0)
	v_add_co_u32_e32 v23, vcc, 0x2000, v19
	v_addc_co_u32_e32 v24, vcc, 0, v20, vcc
	flat_store_dword v[23:24], v21 offset:1024
.LBB8_313:
	s_or_b64 exec, exec, s[0:1]
	v_or_b32_e32 v10, 0xa00, v0
	v_cmp_gt_u32_e32 vcc, s33, v10
	s_and_saveexec_b64 s[0:1], vcc
	s_cbranch_execz .LBB8_315
; %bb.314:
	s_waitcnt lgkmcnt(0)
	v_add_co_u32_e32 v23, vcc, 0x2000, v19
	v_addc_co_u32_e32 v24, vcc, 0, v20, vcc
	flat_store_dword v[23:24], v22 offset:2048
.LBB8_315:
	;; [unrolled: 11-line block ×3, first 2 shown]
	s_or_b64 exec, exec, s[0:1]
	v_or_b32_e32 v10, 0xc00, v0
	v_cmp_gt_u32_e32 vcc, s33, v10
	s_and_saveexec_b64 s[0:1], vcc
	s_cbranch_execz .LBB8_319
; %bb.318:
	v_add_co_u32_e32 v19, vcc, 0x3000, v19
	v_addc_co_u32_e32 v20, vcc, 0, v20, vcc
	s_waitcnt lgkmcnt(0)
	flat_store_dword v[19:20], v18
.LBB8_319:
	s_or_b64 exec, exec, s[0:1]
	v_or_b32_e32 v10, 0xd00, v0
	v_cmp_gt_u32_e64 s[0:1], s33, v10
	s_branch .LBB8_322
.LBB8_320:
	s_mov_b64 s[0:1], 0
                                        ; implicit-def: $vgpr9
	s_cbranch_execz .LBB8_322
; %bb.321:
	s_waitcnt lgkmcnt(0)
	v_mul_u32_u24_e32 v9, 56, v0
	s_waitcnt vmcnt(0)
	s_barrier
	ds_write2_b64 v9, v[1:2], v[5:6] offset1:1
	ds_write2_b64 v9, v[3:4], v[7:8] offset0:2 offset1:3
	ds_write2_b64 v9, v[11:12], v[13:14] offset0:4 offset1:5
	ds_write_b64 v9, v[15:16] offset:48
	v_mul_i32_i24_e32 v1, 0xffffffcc, v0
	v_mad_u32_u24 v7, v0, 56, v1
	s_waitcnt lgkmcnt(0)
	s_barrier
	ds_read2st64_b32 v[1:2], v7 offset1:4
	ds_read2st64_b32 v[3:4], v7 offset0:8 offset1:12
	ds_read2st64_b32 v[5:6], v7 offset0:16 offset1:20
	;; [unrolled: 1-line block ×6, first 2 shown]
	v_lshlrev_b32_e32 v7, 2, v0
	v_mov_b32_e32 v17, s23
	v_add_co_u32_e32 v16, vcc, s22, v7
	v_addc_co_u32_e32 v17, vcc, 0, v17, vcc
	s_movk_i32 s2, 0x1000
	s_waitcnt lgkmcnt(6)
	flat_store_dword v[16:17], v1
	flat_store_dword v[16:17], v2 offset:1024
	s_waitcnt lgkmcnt(0)
	flat_store_dword v[16:17], v3 offset:2048
	flat_store_dword v[16:17], v4 offset:3072
	v_add_co_u32_e32 v1, vcc, s2, v16
	v_addc_co_u32_e32 v2, vcc, 0, v17, vcc
	flat_store_dword v[1:2], v5
	flat_store_dword v[1:2], v6 offset:1024
	flat_store_dword v[1:2], v10 offset:2048
	;; [unrolled: 1-line block ×3, first 2 shown]
	v_add_co_u32_e32 v1, vcc, 0x2000, v16
	v_addc_co_u32_e32 v2, vcc, 0, v17, vcc
	flat_store_dword v[1:2], v12
	flat_store_dword v[1:2], v13 offset:1024
	flat_store_dword v[1:2], v14 offset:2048
	;; [unrolled: 1-line block ×3, first 2 shown]
	v_add_co_u32_e32 v1, vcc, 0x3000, v16
	v_addc_co_u32_e32 v2, vcc, 0, v17, vcc
	s_or_b64 s[0:1], s[0:1], exec
	flat_store_dword v[1:2], v8
.LBB8_322:
	s_and_saveexec_b64 s[2:3], s[0:1]
	s_cbranch_execnz .LBB8_324
; %bb.323:
	s_endpgm
.LBB8_324:
	v_lshlrev_b32_e32 v0, 2, v0
	v_mov_b32_e32 v1, s23
	v_add_co_u32_e32 v0, vcc, s22, v0
	v_addc_co_u32_e32 v1, vcc, 0, v1, vcc
	v_add_co_u32_e32 v0, vcc, 0x3000, v0
	v_addc_co_u32_e32 v1, vcc, 0, v1, vcc
	s_waitcnt lgkmcnt(0)
	flat_store_dword v[0:1], v9 offset:1024
	s_endpgm
.LBB8_325:
                                        ; implicit-def: $sgpr8_sgpr9
	s_branch .LBB8_221
.LBB8_326:
                                        ; implicit-def: $sgpr60_sgpr61
	s_andn2_b64 vcc, exec, s[62:63]
	s_cbranch_vccz .LBB8_96
	s_branch .LBB8_97
.LBB8_327:
                                        ; implicit-def: $sgpr8_sgpr9
	s_andn2_b64 vcc, exec, s[10:11]
	s_cbranch_vccz .LBB8_217
	s_branch .LBB8_218
	.section	.rodata,"a",@progbits
	.p2align	6, 0x0
	.amdhsa_kernel _ZN7rocprim17ROCPRIM_400000_NS6detail17trampoline_kernelINS0_14default_configENS1_27scan_by_key_config_selectorImiEEZZNS1_16scan_by_key_implILNS1_25lookback_scan_determinismE0ELb0ES3_N6thrust23THRUST_200600_302600_NS18transform_iteratorI9row_indexNS9_17counting_iteratorImNS9_11use_defaultESD_SD_EESD_SD_EENS9_6detail15normal_iteratorINS9_10device_ptrIiEEEESK_iNS9_4plusIvEENS9_8equal_toIvEEiEE10hipError_tPvRmT2_T3_T4_T5_mT6_T7_P12ihipStream_tbENKUlT_T0_E_clISt17integral_constantIbLb0EES15_EEDaS10_S11_EUlS10_E_NS1_11comp_targetILNS1_3genE2ELNS1_11target_archE906ELNS1_3gpuE6ELNS1_3repE0EEENS1_30default_config_static_selectorELNS0_4arch9wavefront6targetE1EEEvT1_
		.amdhsa_group_segment_fixed_size 32768
		.amdhsa_private_segment_fixed_size 0
		.amdhsa_kernarg_size 120
		.amdhsa_user_sgpr_count 6
		.amdhsa_user_sgpr_private_segment_buffer 1
		.amdhsa_user_sgpr_dispatch_ptr 0
		.amdhsa_user_sgpr_queue_ptr 0
		.amdhsa_user_sgpr_kernarg_segment_ptr 1
		.amdhsa_user_sgpr_dispatch_id 0
		.amdhsa_user_sgpr_flat_scratch_init 0
		.amdhsa_user_sgpr_private_segment_size 0
		.amdhsa_uses_dynamic_stack 0
		.amdhsa_system_sgpr_private_segment_wavefront_offset 0
		.amdhsa_system_sgpr_workgroup_id_x 1
		.amdhsa_system_sgpr_workgroup_id_y 0
		.amdhsa_system_sgpr_workgroup_id_z 0
		.amdhsa_system_sgpr_workgroup_info 0
		.amdhsa_system_vgpr_workitem_id 0
		.amdhsa_next_free_vgpr 85
		.amdhsa_next_free_sgpr 98
		.amdhsa_reserve_vcc 1
		.amdhsa_reserve_flat_scratch 0
		.amdhsa_float_round_mode_32 0
		.amdhsa_float_round_mode_16_64 0
		.amdhsa_float_denorm_mode_32 3
		.amdhsa_float_denorm_mode_16_64 3
		.amdhsa_dx10_clamp 1
		.amdhsa_ieee_mode 1
		.amdhsa_fp16_overflow 0
		.amdhsa_exception_fp_ieee_invalid_op 0
		.amdhsa_exception_fp_denorm_src 0
		.amdhsa_exception_fp_ieee_div_zero 0
		.amdhsa_exception_fp_ieee_overflow 0
		.amdhsa_exception_fp_ieee_underflow 0
		.amdhsa_exception_fp_ieee_inexact 0
		.amdhsa_exception_int_div_zero 0
	.end_amdhsa_kernel
	.section	.text._ZN7rocprim17ROCPRIM_400000_NS6detail17trampoline_kernelINS0_14default_configENS1_27scan_by_key_config_selectorImiEEZZNS1_16scan_by_key_implILNS1_25lookback_scan_determinismE0ELb0ES3_N6thrust23THRUST_200600_302600_NS18transform_iteratorI9row_indexNS9_17counting_iteratorImNS9_11use_defaultESD_SD_EESD_SD_EENS9_6detail15normal_iteratorINS9_10device_ptrIiEEEESK_iNS9_4plusIvEENS9_8equal_toIvEEiEE10hipError_tPvRmT2_T3_T4_T5_mT6_T7_P12ihipStream_tbENKUlT_T0_E_clISt17integral_constantIbLb0EES15_EEDaS10_S11_EUlS10_E_NS1_11comp_targetILNS1_3genE2ELNS1_11target_archE906ELNS1_3gpuE6ELNS1_3repE0EEENS1_30default_config_static_selectorELNS0_4arch9wavefront6targetE1EEEvT1_,"axG",@progbits,_ZN7rocprim17ROCPRIM_400000_NS6detail17trampoline_kernelINS0_14default_configENS1_27scan_by_key_config_selectorImiEEZZNS1_16scan_by_key_implILNS1_25lookback_scan_determinismE0ELb0ES3_N6thrust23THRUST_200600_302600_NS18transform_iteratorI9row_indexNS9_17counting_iteratorImNS9_11use_defaultESD_SD_EESD_SD_EENS9_6detail15normal_iteratorINS9_10device_ptrIiEEEESK_iNS9_4plusIvEENS9_8equal_toIvEEiEE10hipError_tPvRmT2_T3_T4_T5_mT6_T7_P12ihipStream_tbENKUlT_T0_E_clISt17integral_constantIbLb0EES15_EEDaS10_S11_EUlS10_E_NS1_11comp_targetILNS1_3genE2ELNS1_11target_archE906ELNS1_3gpuE6ELNS1_3repE0EEENS1_30default_config_static_selectorELNS0_4arch9wavefront6targetE1EEEvT1_,comdat
.Lfunc_end8:
	.size	_ZN7rocprim17ROCPRIM_400000_NS6detail17trampoline_kernelINS0_14default_configENS1_27scan_by_key_config_selectorImiEEZZNS1_16scan_by_key_implILNS1_25lookback_scan_determinismE0ELb0ES3_N6thrust23THRUST_200600_302600_NS18transform_iteratorI9row_indexNS9_17counting_iteratorImNS9_11use_defaultESD_SD_EESD_SD_EENS9_6detail15normal_iteratorINS9_10device_ptrIiEEEESK_iNS9_4plusIvEENS9_8equal_toIvEEiEE10hipError_tPvRmT2_T3_T4_T5_mT6_T7_P12ihipStream_tbENKUlT_T0_E_clISt17integral_constantIbLb0EES15_EEDaS10_S11_EUlS10_E_NS1_11comp_targetILNS1_3genE2ELNS1_11target_archE906ELNS1_3gpuE6ELNS1_3repE0EEENS1_30default_config_static_selectorELNS0_4arch9wavefront6targetE1EEEvT1_, .Lfunc_end8-_ZN7rocprim17ROCPRIM_400000_NS6detail17trampoline_kernelINS0_14default_configENS1_27scan_by_key_config_selectorImiEEZZNS1_16scan_by_key_implILNS1_25lookback_scan_determinismE0ELb0ES3_N6thrust23THRUST_200600_302600_NS18transform_iteratorI9row_indexNS9_17counting_iteratorImNS9_11use_defaultESD_SD_EESD_SD_EENS9_6detail15normal_iteratorINS9_10device_ptrIiEEEESK_iNS9_4plusIvEENS9_8equal_toIvEEiEE10hipError_tPvRmT2_T3_T4_T5_mT6_T7_P12ihipStream_tbENKUlT_T0_E_clISt17integral_constantIbLb0EES15_EEDaS10_S11_EUlS10_E_NS1_11comp_targetILNS1_3genE2ELNS1_11target_archE906ELNS1_3gpuE6ELNS1_3repE0EEENS1_30default_config_static_selectorELNS0_4arch9wavefront6targetE1EEEvT1_
                                        ; -- End function
	.set _ZN7rocprim17ROCPRIM_400000_NS6detail17trampoline_kernelINS0_14default_configENS1_27scan_by_key_config_selectorImiEEZZNS1_16scan_by_key_implILNS1_25lookback_scan_determinismE0ELb0ES3_N6thrust23THRUST_200600_302600_NS18transform_iteratorI9row_indexNS9_17counting_iteratorImNS9_11use_defaultESD_SD_EESD_SD_EENS9_6detail15normal_iteratorINS9_10device_ptrIiEEEESK_iNS9_4plusIvEENS9_8equal_toIvEEiEE10hipError_tPvRmT2_T3_T4_T5_mT6_T7_P12ihipStream_tbENKUlT_T0_E_clISt17integral_constantIbLb0EES15_EEDaS10_S11_EUlS10_E_NS1_11comp_targetILNS1_3genE2ELNS1_11target_archE906ELNS1_3gpuE6ELNS1_3repE0EEENS1_30default_config_static_selectorELNS0_4arch9wavefront6targetE1EEEvT1_.num_vgpr, 82
	.set _ZN7rocprim17ROCPRIM_400000_NS6detail17trampoline_kernelINS0_14default_configENS1_27scan_by_key_config_selectorImiEEZZNS1_16scan_by_key_implILNS1_25lookback_scan_determinismE0ELb0ES3_N6thrust23THRUST_200600_302600_NS18transform_iteratorI9row_indexNS9_17counting_iteratorImNS9_11use_defaultESD_SD_EESD_SD_EENS9_6detail15normal_iteratorINS9_10device_ptrIiEEEESK_iNS9_4plusIvEENS9_8equal_toIvEEiEE10hipError_tPvRmT2_T3_T4_T5_mT6_T7_P12ihipStream_tbENKUlT_T0_E_clISt17integral_constantIbLb0EES15_EEDaS10_S11_EUlS10_E_NS1_11comp_targetILNS1_3genE2ELNS1_11target_archE906ELNS1_3gpuE6ELNS1_3repE0EEENS1_30default_config_static_selectorELNS0_4arch9wavefront6targetE1EEEvT1_.num_agpr, 0
	.set _ZN7rocprim17ROCPRIM_400000_NS6detail17trampoline_kernelINS0_14default_configENS1_27scan_by_key_config_selectorImiEEZZNS1_16scan_by_key_implILNS1_25lookback_scan_determinismE0ELb0ES3_N6thrust23THRUST_200600_302600_NS18transform_iteratorI9row_indexNS9_17counting_iteratorImNS9_11use_defaultESD_SD_EESD_SD_EENS9_6detail15normal_iteratorINS9_10device_ptrIiEEEESK_iNS9_4plusIvEENS9_8equal_toIvEEiEE10hipError_tPvRmT2_T3_T4_T5_mT6_T7_P12ihipStream_tbENKUlT_T0_E_clISt17integral_constantIbLb0EES15_EEDaS10_S11_EUlS10_E_NS1_11comp_targetILNS1_3genE2ELNS1_11target_archE906ELNS1_3gpuE6ELNS1_3repE0EEENS1_30default_config_static_selectorELNS0_4arch9wavefront6targetE1EEEvT1_.numbered_sgpr, 75
	.set _ZN7rocprim17ROCPRIM_400000_NS6detail17trampoline_kernelINS0_14default_configENS1_27scan_by_key_config_selectorImiEEZZNS1_16scan_by_key_implILNS1_25lookback_scan_determinismE0ELb0ES3_N6thrust23THRUST_200600_302600_NS18transform_iteratorI9row_indexNS9_17counting_iteratorImNS9_11use_defaultESD_SD_EESD_SD_EENS9_6detail15normal_iteratorINS9_10device_ptrIiEEEESK_iNS9_4plusIvEENS9_8equal_toIvEEiEE10hipError_tPvRmT2_T3_T4_T5_mT6_T7_P12ihipStream_tbENKUlT_T0_E_clISt17integral_constantIbLb0EES15_EEDaS10_S11_EUlS10_E_NS1_11comp_targetILNS1_3genE2ELNS1_11target_archE906ELNS1_3gpuE6ELNS1_3repE0EEENS1_30default_config_static_selectorELNS0_4arch9wavefront6targetE1EEEvT1_.num_named_barrier, 0
	.set _ZN7rocprim17ROCPRIM_400000_NS6detail17trampoline_kernelINS0_14default_configENS1_27scan_by_key_config_selectorImiEEZZNS1_16scan_by_key_implILNS1_25lookback_scan_determinismE0ELb0ES3_N6thrust23THRUST_200600_302600_NS18transform_iteratorI9row_indexNS9_17counting_iteratorImNS9_11use_defaultESD_SD_EESD_SD_EENS9_6detail15normal_iteratorINS9_10device_ptrIiEEEESK_iNS9_4plusIvEENS9_8equal_toIvEEiEE10hipError_tPvRmT2_T3_T4_T5_mT6_T7_P12ihipStream_tbENKUlT_T0_E_clISt17integral_constantIbLb0EES15_EEDaS10_S11_EUlS10_E_NS1_11comp_targetILNS1_3genE2ELNS1_11target_archE906ELNS1_3gpuE6ELNS1_3repE0EEENS1_30default_config_static_selectorELNS0_4arch9wavefront6targetE1EEEvT1_.private_seg_size, 0
	.set _ZN7rocprim17ROCPRIM_400000_NS6detail17trampoline_kernelINS0_14default_configENS1_27scan_by_key_config_selectorImiEEZZNS1_16scan_by_key_implILNS1_25lookback_scan_determinismE0ELb0ES3_N6thrust23THRUST_200600_302600_NS18transform_iteratorI9row_indexNS9_17counting_iteratorImNS9_11use_defaultESD_SD_EESD_SD_EENS9_6detail15normal_iteratorINS9_10device_ptrIiEEEESK_iNS9_4plusIvEENS9_8equal_toIvEEiEE10hipError_tPvRmT2_T3_T4_T5_mT6_T7_P12ihipStream_tbENKUlT_T0_E_clISt17integral_constantIbLb0EES15_EEDaS10_S11_EUlS10_E_NS1_11comp_targetILNS1_3genE2ELNS1_11target_archE906ELNS1_3gpuE6ELNS1_3repE0EEENS1_30default_config_static_selectorELNS0_4arch9wavefront6targetE1EEEvT1_.uses_vcc, 1
	.set _ZN7rocprim17ROCPRIM_400000_NS6detail17trampoline_kernelINS0_14default_configENS1_27scan_by_key_config_selectorImiEEZZNS1_16scan_by_key_implILNS1_25lookback_scan_determinismE0ELb0ES3_N6thrust23THRUST_200600_302600_NS18transform_iteratorI9row_indexNS9_17counting_iteratorImNS9_11use_defaultESD_SD_EESD_SD_EENS9_6detail15normal_iteratorINS9_10device_ptrIiEEEESK_iNS9_4plusIvEENS9_8equal_toIvEEiEE10hipError_tPvRmT2_T3_T4_T5_mT6_T7_P12ihipStream_tbENKUlT_T0_E_clISt17integral_constantIbLb0EES15_EEDaS10_S11_EUlS10_E_NS1_11comp_targetILNS1_3genE2ELNS1_11target_archE906ELNS1_3gpuE6ELNS1_3repE0EEENS1_30default_config_static_selectorELNS0_4arch9wavefront6targetE1EEEvT1_.uses_flat_scratch, 0
	.set _ZN7rocprim17ROCPRIM_400000_NS6detail17trampoline_kernelINS0_14default_configENS1_27scan_by_key_config_selectorImiEEZZNS1_16scan_by_key_implILNS1_25lookback_scan_determinismE0ELb0ES3_N6thrust23THRUST_200600_302600_NS18transform_iteratorI9row_indexNS9_17counting_iteratorImNS9_11use_defaultESD_SD_EESD_SD_EENS9_6detail15normal_iteratorINS9_10device_ptrIiEEEESK_iNS9_4plusIvEENS9_8equal_toIvEEiEE10hipError_tPvRmT2_T3_T4_T5_mT6_T7_P12ihipStream_tbENKUlT_T0_E_clISt17integral_constantIbLb0EES15_EEDaS10_S11_EUlS10_E_NS1_11comp_targetILNS1_3genE2ELNS1_11target_archE906ELNS1_3gpuE6ELNS1_3repE0EEENS1_30default_config_static_selectorELNS0_4arch9wavefront6targetE1EEEvT1_.has_dyn_sized_stack, 0
	.set _ZN7rocprim17ROCPRIM_400000_NS6detail17trampoline_kernelINS0_14default_configENS1_27scan_by_key_config_selectorImiEEZZNS1_16scan_by_key_implILNS1_25lookback_scan_determinismE0ELb0ES3_N6thrust23THRUST_200600_302600_NS18transform_iteratorI9row_indexNS9_17counting_iteratorImNS9_11use_defaultESD_SD_EESD_SD_EENS9_6detail15normal_iteratorINS9_10device_ptrIiEEEESK_iNS9_4plusIvEENS9_8equal_toIvEEiEE10hipError_tPvRmT2_T3_T4_T5_mT6_T7_P12ihipStream_tbENKUlT_T0_E_clISt17integral_constantIbLb0EES15_EEDaS10_S11_EUlS10_E_NS1_11comp_targetILNS1_3genE2ELNS1_11target_archE906ELNS1_3gpuE6ELNS1_3repE0EEENS1_30default_config_static_selectorELNS0_4arch9wavefront6targetE1EEEvT1_.has_recursion, 0
	.set _ZN7rocprim17ROCPRIM_400000_NS6detail17trampoline_kernelINS0_14default_configENS1_27scan_by_key_config_selectorImiEEZZNS1_16scan_by_key_implILNS1_25lookback_scan_determinismE0ELb0ES3_N6thrust23THRUST_200600_302600_NS18transform_iteratorI9row_indexNS9_17counting_iteratorImNS9_11use_defaultESD_SD_EESD_SD_EENS9_6detail15normal_iteratorINS9_10device_ptrIiEEEESK_iNS9_4plusIvEENS9_8equal_toIvEEiEE10hipError_tPvRmT2_T3_T4_T5_mT6_T7_P12ihipStream_tbENKUlT_T0_E_clISt17integral_constantIbLb0EES15_EEDaS10_S11_EUlS10_E_NS1_11comp_targetILNS1_3genE2ELNS1_11target_archE906ELNS1_3gpuE6ELNS1_3repE0EEENS1_30default_config_static_selectorELNS0_4arch9wavefront6targetE1EEEvT1_.has_indirect_call, 0
	.section	.AMDGPU.csdata,"",@progbits
; Kernel info:
; codeLenInByte = 33176
; TotalNumSgprs: 79
; NumVgprs: 82
; ScratchSize: 0
; MemoryBound: 0
; FloatMode: 240
; IeeeMode: 1
; LDSByteSize: 32768 bytes/workgroup (compile time only)
; SGPRBlocks: 12
; VGPRBlocks: 21
; NumSGPRsForWavesPerEU: 102
; NumVGPRsForWavesPerEU: 85
; Occupancy: 2
; WaveLimiterHint : 1
; COMPUTE_PGM_RSRC2:SCRATCH_EN: 0
; COMPUTE_PGM_RSRC2:USER_SGPR: 6
; COMPUTE_PGM_RSRC2:TRAP_HANDLER: 0
; COMPUTE_PGM_RSRC2:TGID_X_EN: 1
; COMPUTE_PGM_RSRC2:TGID_Y_EN: 0
; COMPUTE_PGM_RSRC2:TGID_Z_EN: 0
; COMPUTE_PGM_RSRC2:TIDIG_COMP_CNT: 0
	.section	.text._ZN7rocprim17ROCPRIM_400000_NS6detail17trampoline_kernelINS0_14default_configENS1_27scan_by_key_config_selectorImiEEZZNS1_16scan_by_key_implILNS1_25lookback_scan_determinismE0ELb0ES3_N6thrust23THRUST_200600_302600_NS18transform_iteratorI9row_indexNS9_17counting_iteratorImNS9_11use_defaultESD_SD_EESD_SD_EENS9_6detail15normal_iteratorINS9_10device_ptrIiEEEESK_iNS9_4plusIvEENS9_8equal_toIvEEiEE10hipError_tPvRmT2_T3_T4_T5_mT6_T7_P12ihipStream_tbENKUlT_T0_E_clISt17integral_constantIbLb0EES15_EEDaS10_S11_EUlS10_E_NS1_11comp_targetILNS1_3genE10ELNS1_11target_archE1200ELNS1_3gpuE4ELNS1_3repE0EEENS1_30default_config_static_selectorELNS0_4arch9wavefront6targetE1EEEvT1_,"axG",@progbits,_ZN7rocprim17ROCPRIM_400000_NS6detail17trampoline_kernelINS0_14default_configENS1_27scan_by_key_config_selectorImiEEZZNS1_16scan_by_key_implILNS1_25lookback_scan_determinismE0ELb0ES3_N6thrust23THRUST_200600_302600_NS18transform_iteratorI9row_indexNS9_17counting_iteratorImNS9_11use_defaultESD_SD_EESD_SD_EENS9_6detail15normal_iteratorINS9_10device_ptrIiEEEESK_iNS9_4plusIvEENS9_8equal_toIvEEiEE10hipError_tPvRmT2_T3_T4_T5_mT6_T7_P12ihipStream_tbENKUlT_T0_E_clISt17integral_constantIbLb0EES15_EEDaS10_S11_EUlS10_E_NS1_11comp_targetILNS1_3genE10ELNS1_11target_archE1200ELNS1_3gpuE4ELNS1_3repE0EEENS1_30default_config_static_selectorELNS0_4arch9wavefront6targetE1EEEvT1_,comdat
	.protected	_ZN7rocprim17ROCPRIM_400000_NS6detail17trampoline_kernelINS0_14default_configENS1_27scan_by_key_config_selectorImiEEZZNS1_16scan_by_key_implILNS1_25lookback_scan_determinismE0ELb0ES3_N6thrust23THRUST_200600_302600_NS18transform_iteratorI9row_indexNS9_17counting_iteratorImNS9_11use_defaultESD_SD_EESD_SD_EENS9_6detail15normal_iteratorINS9_10device_ptrIiEEEESK_iNS9_4plusIvEENS9_8equal_toIvEEiEE10hipError_tPvRmT2_T3_T4_T5_mT6_T7_P12ihipStream_tbENKUlT_T0_E_clISt17integral_constantIbLb0EES15_EEDaS10_S11_EUlS10_E_NS1_11comp_targetILNS1_3genE10ELNS1_11target_archE1200ELNS1_3gpuE4ELNS1_3repE0EEENS1_30default_config_static_selectorELNS0_4arch9wavefront6targetE1EEEvT1_ ; -- Begin function _ZN7rocprim17ROCPRIM_400000_NS6detail17trampoline_kernelINS0_14default_configENS1_27scan_by_key_config_selectorImiEEZZNS1_16scan_by_key_implILNS1_25lookback_scan_determinismE0ELb0ES3_N6thrust23THRUST_200600_302600_NS18transform_iteratorI9row_indexNS9_17counting_iteratorImNS9_11use_defaultESD_SD_EESD_SD_EENS9_6detail15normal_iteratorINS9_10device_ptrIiEEEESK_iNS9_4plusIvEENS9_8equal_toIvEEiEE10hipError_tPvRmT2_T3_T4_T5_mT6_T7_P12ihipStream_tbENKUlT_T0_E_clISt17integral_constantIbLb0EES15_EEDaS10_S11_EUlS10_E_NS1_11comp_targetILNS1_3genE10ELNS1_11target_archE1200ELNS1_3gpuE4ELNS1_3repE0EEENS1_30default_config_static_selectorELNS0_4arch9wavefront6targetE1EEEvT1_
	.globl	_ZN7rocprim17ROCPRIM_400000_NS6detail17trampoline_kernelINS0_14default_configENS1_27scan_by_key_config_selectorImiEEZZNS1_16scan_by_key_implILNS1_25lookback_scan_determinismE0ELb0ES3_N6thrust23THRUST_200600_302600_NS18transform_iteratorI9row_indexNS9_17counting_iteratorImNS9_11use_defaultESD_SD_EESD_SD_EENS9_6detail15normal_iteratorINS9_10device_ptrIiEEEESK_iNS9_4plusIvEENS9_8equal_toIvEEiEE10hipError_tPvRmT2_T3_T4_T5_mT6_T7_P12ihipStream_tbENKUlT_T0_E_clISt17integral_constantIbLb0EES15_EEDaS10_S11_EUlS10_E_NS1_11comp_targetILNS1_3genE10ELNS1_11target_archE1200ELNS1_3gpuE4ELNS1_3repE0EEENS1_30default_config_static_selectorELNS0_4arch9wavefront6targetE1EEEvT1_
	.p2align	8
	.type	_ZN7rocprim17ROCPRIM_400000_NS6detail17trampoline_kernelINS0_14default_configENS1_27scan_by_key_config_selectorImiEEZZNS1_16scan_by_key_implILNS1_25lookback_scan_determinismE0ELb0ES3_N6thrust23THRUST_200600_302600_NS18transform_iteratorI9row_indexNS9_17counting_iteratorImNS9_11use_defaultESD_SD_EESD_SD_EENS9_6detail15normal_iteratorINS9_10device_ptrIiEEEESK_iNS9_4plusIvEENS9_8equal_toIvEEiEE10hipError_tPvRmT2_T3_T4_T5_mT6_T7_P12ihipStream_tbENKUlT_T0_E_clISt17integral_constantIbLb0EES15_EEDaS10_S11_EUlS10_E_NS1_11comp_targetILNS1_3genE10ELNS1_11target_archE1200ELNS1_3gpuE4ELNS1_3repE0EEENS1_30default_config_static_selectorELNS0_4arch9wavefront6targetE1EEEvT1_,@function
_ZN7rocprim17ROCPRIM_400000_NS6detail17trampoline_kernelINS0_14default_configENS1_27scan_by_key_config_selectorImiEEZZNS1_16scan_by_key_implILNS1_25lookback_scan_determinismE0ELb0ES3_N6thrust23THRUST_200600_302600_NS18transform_iteratorI9row_indexNS9_17counting_iteratorImNS9_11use_defaultESD_SD_EESD_SD_EENS9_6detail15normal_iteratorINS9_10device_ptrIiEEEESK_iNS9_4plusIvEENS9_8equal_toIvEEiEE10hipError_tPvRmT2_T3_T4_T5_mT6_T7_P12ihipStream_tbENKUlT_T0_E_clISt17integral_constantIbLb0EES15_EEDaS10_S11_EUlS10_E_NS1_11comp_targetILNS1_3genE10ELNS1_11target_archE1200ELNS1_3gpuE4ELNS1_3repE0EEENS1_30default_config_static_selectorELNS0_4arch9wavefront6targetE1EEEvT1_: ; @_ZN7rocprim17ROCPRIM_400000_NS6detail17trampoline_kernelINS0_14default_configENS1_27scan_by_key_config_selectorImiEEZZNS1_16scan_by_key_implILNS1_25lookback_scan_determinismE0ELb0ES3_N6thrust23THRUST_200600_302600_NS18transform_iteratorI9row_indexNS9_17counting_iteratorImNS9_11use_defaultESD_SD_EESD_SD_EENS9_6detail15normal_iteratorINS9_10device_ptrIiEEEESK_iNS9_4plusIvEENS9_8equal_toIvEEiEE10hipError_tPvRmT2_T3_T4_T5_mT6_T7_P12ihipStream_tbENKUlT_T0_E_clISt17integral_constantIbLb0EES15_EEDaS10_S11_EUlS10_E_NS1_11comp_targetILNS1_3genE10ELNS1_11target_archE1200ELNS1_3gpuE4ELNS1_3repE0EEENS1_30default_config_static_selectorELNS0_4arch9wavefront6targetE1EEEvT1_
; %bb.0:
	.section	.rodata,"a",@progbits
	.p2align	6, 0x0
	.amdhsa_kernel _ZN7rocprim17ROCPRIM_400000_NS6detail17trampoline_kernelINS0_14default_configENS1_27scan_by_key_config_selectorImiEEZZNS1_16scan_by_key_implILNS1_25lookback_scan_determinismE0ELb0ES3_N6thrust23THRUST_200600_302600_NS18transform_iteratorI9row_indexNS9_17counting_iteratorImNS9_11use_defaultESD_SD_EESD_SD_EENS9_6detail15normal_iteratorINS9_10device_ptrIiEEEESK_iNS9_4plusIvEENS9_8equal_toIvEEiEE10hipError_tPvRmT2_T3_T4_T5_mT6_T7_P12ihipStream_tbENKUlT_T0_E_clISt17integral_constantIbLb0EES15_EEDaS10_S11_EUlS10_E_NS1_11comp_targetILNS1_3genE10ELNS1_11target_archE1200ELNS1_3gpuE4ELNS1_3repE0EEENS1_30default_config_static_selectorELNS0_4arch9wavefront6targetE1EEEvT1_
		.amdhsa_group_segment_fixed_size 0
		.amdhsa_private_segment_fixed_size 0
		.amdhsa_kernarg_size 120
		.amdhsa_user_sgpr_count 6
		.amdhsa_user_sgpr_private_segment_buffer 1
		.amdhsa_user_sgpr_dispatch_ptr 0
		.amdhsa_user_sgpr_queue_ptr 0
		.amdhsa_user_sgpr_kernarg_segment_ptr 1
		.amdhsa_user_sgpr_dispatch_id 0
		.amdhsa_user_sgpr_flat_scratch_init 0
		.amdhsa_user_sgpr_private_segment_size 0
		.amdhsa_uses_dynamic_stack 0
		.amdhsa_system_sgpr_private_segment_wavefront_offset 0
		.amdhsa_system_sgpr_workgroup_id_x 1
		.amdhsa_system_sgpr_workgroup_id_y 0
		.amdhsa_system_sgpr_workgroup_id_z 0
		.amdhsa_system_sgpr_workgroup_info 0
		.amdhsa_system_vgpr_workitem_id 0
		.amdhsa_next_free_vgpr 1
		.amdhsa_next_free_sgpr 0
		.amdhsa_reserve_vcc 0
		.amdhsa_reserve_flat_scratch 0
		.amdhsa_float_round_mode_32 0
		.amdhsa_float_round_mode_16_64 0
		.amdhsa_float_denorm_mode_32 3
		.amdhsa_float_denorm_mode_16_64 3
		.amdhsa_dx10_clamp 1
		.amdhsa_ieee_mode 1
		.amdhsa_fp16_overflow 0
		.amdhsa_exception_fp_ieee_invalid_op 0
		.amdhsa_exception_fp_denorm_src 0
		.amdhsa_exception_fp_ieee_div_zero 0
		.amdhsa_exception_fp_ieee_overflow 0
		.amdhsa_exception_fp_ieee_underflow 0
		.amdhsa_exception_fp_ieee_inexact 0
		.amdhsa_exception_int_div_zero 0
	.end_amdhsa_kernel
	.section	.text._ZN7rocprim17ROCPRIM_400000_NS6detail17trampoline_kernelINS0_14default_configENS1_27scan_by_key_config_selectorImiEEZZNS1_16scan_by_key_implILNS1_25lookback_scan_determinismE0ELb0ES3_N6thrust23THRUST_200600_302600_NS18transform_iteratorI9row_indexNS9_17counting_iteratorImNS9_11use_defaultESD_SD_EESD_SD_EENS9_6detail15normal_iteratorINS9_10device_ptrIiEEEESK_iNS9_4plusIvEENS9_8equal_toIvEEiEE10hipError_tPvRmT2_T3_T4_T5_mT6_T7_P12ihipStream_tbENKUlT_T0_E_clISt17integral_constantIbLb0EES15_EEDaS10_S11_EUlS10_E_NS1_11comp_targetILNS1_3genE10ELNS1_11target_archE1200ELNS1_3gpuE4ELNS1_3repE0EEENS1_30default_config_static_selectorELNS0_4arch9wavefront6targetE1EEEvT1_,"axG",@progbits,_ZN7rocprim17ROCPRIM_400000_NS6detail17trampoline_kernelINS0_14default_configENS1_27scan_by_key_config_selectorImiEEZZNS1_16scan_by_key_implILNS1_25lookback_scan_determinismE0ELb0ES3_N6thrust23THRUST_200600_302600_NS18transform_iteratorI9row_indexNS9_17counting_iteratorImNS9_11use_defaultESD_SD_EESD_SD_EENS9_6detail15normal_iteratorINS9_10device_ptrIiEEEESK_iNS9_4plusIvEENS9_8equal_toIvEEiEE10hipError_tPvRmT2_T3_T4_T5_mT6_T7_P12ihipStream_tbENKUlT_T0_E_clISt17integral_constantIbLb0EES15_EEDaS10_S11_EUlS10_E_NS1_11comp_targetILNS1_3genE10ELNS1_11target_archE1200ELNS1_3gpuE4ELNS1_3repE0EEENS1_30default_config_static_selectorELNS0_4arch9wavefront6targetE1EEEvT1_,comdat
.Lfunc_end9:
	.size	_ZN7rocprim17ROCPRIM_400000_NS6detail17trampoline_kernelINS0_14default_configENS1_27scan_by_key_config_selectorImiEEZZNS1_16scan_by_key_implILNS1_25lookback_scan_determinismE0ELb0ES3_N6thrust23THRUST_200600_302600_NS18transform_iteratorI9row_indexNS9_17counting_iteratorImNS9_11use_defaultESD_SD_EESD_SD_EENS9_6detail15normal_iteratorINS9_10device_ptrIiEEEESK_iNS9_4plusIvEENS9_8equal_toIvEEiEE10hipError_tPvRmT2_T3_T4_T5_mT6_T7_P12ihipStream_tbENKUlT_T0_E_clISt17integral_constantIbLb0EES15_EEDaS10_S11_EUlS10_E_NS1_11comp_targetILNS1_3genE10ELNS1_11target_archE1200ELNS1_3gpuE4ELNS1_3repE0EEENS1_30default_config_static_selectorELNS0_4arch9wavefront6targetE1EEEvT1_, .Lfunc_end9-_ZN7rocprim17ROCPRIM_400000_NS6detail17trampoline_kernelINS0_14default_configENS1_27scan_by_key_config_selectorImiEEZZNS1_16scan_by_key_implILNS1_25lookback_scan_determinismE0ELb0ES3_N6thrust23THRUST_200600_302600_NS18transform_iteratorI9row_indexNS9_17counting_iteratorImNS9_11use_defaultESD_SD_EESD_SD_EENS9_6detail15normal_iteratorINS9_10device_ptrIiEEEESK_iNS9_4plusIvEENS9_8equal_toIvEEiEE10hipError_tPvRmT2_T3_T4_T5_mT6_T7_P12ihipStream_tbENKUlT_T0_E_clISt17integral_constantIbLb0EES15_EEDaS10_S11_EUlS10_E_NS1_11comp_targetILNS1_3genE10ELNS1_11target_archE1200ELNS1_3gpuE4ELNS1_3repE0EEENS1_30default_config_static_selectorELNS0_4arch9wavefront6targetE1EEEvT1_
                                        ; -- End function
	.set _ZN7rocprim17ROCPRIM_400000_NS6detail17trampoline_kernelINS0_14default_configENS1_27scan_by_key_config_selectorImiEEZZNS1_16scan_by_key_implILNS1_25lookback_scan_determinismE0ELb0ES3_N6thrust23THRUST_200600_302600_NS18transform_iteratorI9row_indexNS9_17counting_iteratorImNS9_11use_defaultESD_SD_EESD_SD_EENS9_6detail15normal_iteratorINS9_10device_ptrIiEEEESK_iNS9_4plusIvEENS9_8equal_toIvEEiEE10hipError_tPvRmT2_T3_T4_T5_mT6_T7_P12ihipStream_tbENKUlT_T0_E_clISt17integral_constantIbLb0EES15_EEDaS10_S11_EUlS10_E_NS1_11comp_targetILNS1_3genE10ELNS1_11target_archE1200ELNS1_3gpuE4ELNS1_3repE0EEENS1_30default_config_static_selectorELNS0_4arch9wavefront6targetE1EEEvT1_.num_vgpr, 0
	.set _ZN7rocprim17ROCPRIM_400000_NS6detail17trampoline_kernelINS0_14default_configENS1_27scan_by_key_config_selectorImiEEZZNS1_16scan_by_key_implILNS1_25lookback_scan_determinismE0ELb0ES3_N6thrust23THRUST_200600_302600_NS18transform_iteratorI9row_indexNS9_17counting_iteratorImNS9_11use_defaultESD_SD_EESD_SD_EENS9_6detail15normal_iteratorINS9_10device_ptrIiEEEESK_iNS9_4plusIvEENS9_8equal_toIvEEiEE10hipError_tPvRmT2_T3_T4_T5_mT6_T7_P12ihipStream_tbENKUlT_T0_E_clISt17integral_constantIbLb0EES15_EEDaS10_S11_EUlS10_E_NS1_11comp_targetILNS1_3genE10ELNS1_11target_archE1200ELNS1_3gpuE4ELNS1_3repE0EEENS1_30default_config_static_selectorELNS0_4arch9wavefront6targetE1EEEvT1_.num_agpr, 0
	.set _ZN7rocprim17ROCPRIM_400000_NS6detail17trampoline_kernelINS0_14default_configENS1_27scan_by_key_config_selectorImiEEZZNS1_16scan_by_key_implILNS1_25lookback_scan_determinismE0ELb0ES3_N6thrust23THRUST_200600_302600_NS18transform_iteratorI9row_indexNS9_17counting_iteratorImNS9_11use_defaultESD_SD_EESD_SD_EENS9_6detail15normal_iteratorINS9_10device_ptrIiEEEESK_iNS9_4plusIvEENS9_8equal_toIvEEiEE10hipError_tPvRmT2_T3_T4_T5_mT6_T7_P12ihipStream_tbENKUlT_T0_E_clISt17integral_constantIbLb0EES15_EEDaS10_S11_EUlS10_E_NS1_11comp_targetILNS1_3genE10ELNS1_11target_archE1200ELNS1_3gpuE4ELNS1_3repE0EEENS1_30default_config_static_selectorELNS0_4arch9wavefront6targetE1EEEvT1_.numbered_sgpr, 0
	.set _ZN7rocprim17ROCPRIM_400000_NS6detail17trampoline_kernelINS0_14default_configENS1_27scan_by_key_config_selectorImiEEZZNS1_16scan_by_key_implILNS1_25lookback_scan_determinismE0ELb0ES3_N6thrust23THRUST_200600_302600_NS18transform_iteratorI9row_indexNS9_17counting_iteratorImNS9_11use_defaultESD_SD_EESD_SD_EENS9_6detail15normal_iteratorINS9_10device_ptrIiEEEESK_iNS9_4plusIvEENS9_8equal_toIvEEiEE10hipError_tPvRmT2_T3_T4_T5_mT6_T7_P12ihipStream_tbENKUlT_T0_E_clISt17integral_constantIbLb0EES15_EEDaS10_S11_EUlS10_E_NS1_11comp_targetILNS1_3genE10ELNS1_11target_archE1200ELNS1_3gpuE4ELNS1_3repE0EEENS1_30default_config_static_selectorELNS0_4arch9wavefront6targetE1EEEvT1_.num_named_barrier, 0
	.set _ZN7rocprim17ROCPRIM_400000_NS6detail17trampoline_kernelINS0_14default_configENS1_27scan_by_key_config_selectorImiEEZZNS1_16scan_by_key_implILNS1_25lookback_scan_determinismE0ELb0ES3_N6thrust23THRUST_200600_302600_NS18transform_iteratorI9row_indexNS9_17counting_iteratorImNS9_11use_defaultESD_SD_EESD_SD_EENS9_6detail15normal_iteratorINS9_10device_ptrIiEEEESK_iNS9_4plusIvEENS9_8equal_toIvEEiEE10hipError_tPvRmT2_T3_T4_T5_mT6_T7_P12ihipStream_tbENKUlT_T0_E_clISt17integral_constantIbLb0EES15_EEDaS10_S11_EUlS10_E_NS1_11comp_targetILNS1_3genE10ELNS1_11target_archE1200ELNS1_3gpuE4ELNS1_3repE0EEENS1_30default_config_static_selectorELNS0_4arch9wavefront6targetE1EEEvT1_.private_seg_size, 0
	.set _ZN7rocprim17ROCPRIM_400000_NS6detail17trampoline_kernelINS0_14default_configENS1_27scan_by_key_config_selectorImiEEZZNS1_16scan_by_key_implILNS1_25lookback_scan_determinismE0ELb0ES3_N6thrust23THRUST_200600_302600_NS18transform_iteratorI9row_indexNS9_17counting_iteratorImNS9_11use_defaultESD_SD_EESD_SD_EENS9_6detail15normal_iteratorINS9_10device_ptrIiEEEESK_iNS9_4plusIvEENS9_8equal_toIvEEiEE10hipError_tPvRmT2_T3_T4_T5_mT6_T7_P12ihipStream_tbENKUlT_T0_E_clISt17integral_constantIbLb0EES15_EEDaS10_S11_EUlS10_E_NS1_11comp_targetILNS1_3genE10ELNS1_11target_archE1200ELNS1_3gpuE4ELNS1_3repE0EEENS1_30default_config_static_selectorELNS0_4arch9wavefront6targetE1EEEvT1_.uses_vcc, 0
	.set _ZN7rocprim17ROCPRIM_400000_NS6detail17trampoline_kernelINS0_14default_configENS1_27scan_by_key_config_selectorImiEEZZNS1_16scan_by_key_implILNS1_25lookback_scan_determinismE0ELb0ES3_N6thrust23THRUST_200600_302600_NS18transform_iteratorI9row_indexNS9_17counting_iteratorImNS9_11use_defaultESD_SD_EESD_SD_EENS9_6detail15normal_iteratorINS9_10device_ptrIiEEEESK_iNS9_4plusIvEENS9_8equal_toIvEEiEE10hipError_tPvRmT2_T3_T4_T5_mT6_T7_P12ihipStream_tbENKUlT_T0_E_clISt17integral_constantIbLb0EES15_EEDaS10_S11_EUlS10_E_NS1_11comp_targetILNS1_3genE10ELNS1_11target_archE1200ELNS1_3gpuE4ELNS1_3repE0EEENS1_30default_config_static_selectorELNS0_4arch9wavefront6targetE1EEEvT1_.uses_flat_scratch, 0
	.set _ZN7rocprim17ROCPRIM_400000_NS6detail17trampoline_kernelINS0_14default_configENS1_27scan_by_key_config_selectorImiEEZZNS1_16scan_by_key_implILNS1_25lookback_scan_determinismE0ELb0ES3_N6thrust23THRUST_200600_302600_NS18transform_iteratorI9row_indexNS9_17counting_iteratorImNS9_11use_defaultESD_SD_EESD_SD_EENS9_6detail15normal_iteratorINS9_10device_ptrIiEEEESK_iNS9_4plusIvEENS9_8equal_toIvEEiEE10hipError_tPvRmT2_T3_T4_T5_mT6_T7_P12ihipStream_tbENKUlT_T0_E_clISt17integral_constantIbLb0EES15_EEDaS10_S11_EUlS10_E_NS1_11comp_targetILNS1_3genE10ELNS1_11target_archE1200ELNS1_3gpuE4ELNS1_3repE0EEENS1_30default_config_static_selectorELNS0_4arch9wavefront6targetE1EEEvT1_.has_dyn_sized_stack, 0
	.set _ZN7rocprim17ROCPRIM_400000_NS6detail17trampoline_kernelINS0_14default_configENS1_27scan_by_key_config_selectorImiEEZZNS1_16scan_by_key_implILNS1_25lookback_scan_determinismE0ELb0ES3_N6thrust23THRUST_200600_302600_NS18transform_iteratorI9row_indexNS9_17counting_iteratorImNS9_11use_defaultESD_SD_EESD_SD_EENS9_6detail15normal_iteratorINS9_10device_ptrIiEEEESK_iNS9_4plusIvEENS9_8equal_toIvEEiEE10hipError_tPvRmT2_T3_T4_T5_mT6_T7_P12ihipStream_tbENKUlT_T0_E_clISt17integral_constantIbLb0EES15_EEDaS10_S11_EUlS10_E_NS1_11comp_targetILNS1_3genE10ELNS1_11target_archE1200ELNS1_3gpuE4ELNS1_3repE0EEENS1_30default_config_static_selectorELNS0_4arch9wavefront6targetE1EEEvT1_.has_recursion, 0
	.set _ZN7rocprim17ROCPRIM_400000_NS6detail17trampoline_kernelINS0_14default_configENS1_27scan_by_key_config_selectorImiEEZZNS1_16scan_by_key_implILNS1_25lookback_scan_determinismE0ELb0ES3_N6thrust23THRUST_200600_302600_NS18transform_iteratorI9row_indexNS9_17counting_iteratorImNS9_11use_defaultESD_SD_EESD_SD_EENS9_6detail15normal_iteratorINS9_10device_ptrIiEEEESK_iNS9_4plusIvEENS9_8equal_toIvEEiEE10hipError_tPvRmT2_T3_T4_T5_mT6_T7_P12ihipStream_tbENKUlT_T0_E_clISt17integral_constantIbLb0EES15_EEDaS10_S11_EUlS10_E_NS1_11comp_targetILNS1_3genE10ELNS1_11target_archE1200ELNS1_3gpuE4ELNS1_3repE0EEENS1_30default_config_static_selectorELNS0_4arch9wavefront6targetE1EEEvT1_.has_indirect_call, 0
	.section	.AMDGPU.csdata,"",@progbits
; Kernel info:
; codeLenInByte = 0
; TotalNumSgprs: 4
; NumVgprs: 0
; ScratchSize: 0
; MemoryBound: 0
; FloatMode: 240
; IeeeMode: 1
; LDSByteSize: 0 bytes/workgroup (compile time only)
; SGPRBlocks: 0
; VGPRBlocks: 0
; NumSGPRsForWavesPerEU: 4
; NumVGPRsForWavesPerEU: 1
; Occupancy: 10
; WaveLimiterHint : 0
; COMPUTE_PGM_RSRC2:SCRATCH_EN: 0
; COMPUTE_PGM_RSRC2:USER_SGPR: 6
; COMPUTE_PGM_RSRC2:TRAP_HANDLER: 0
; COMPUTE_PGM_RSRC2:TGID_X_EN: 1
; COMPUTE_PGM_RSRC2:TGID_Y_EN: 0
; COMPUTE_PGM_RSRC2:TGID_Z_EN: 0
; COMPUTE_PGM_RSRC2:TIDIG_COMP_CNT: 0
	.section	.text._ZN7rocprim17ROCPRIM_400000_NS6detail17trampoline_kernelINS0_14default_configENS1_27scan_by_key_config_selectorImiEEZZNS1_16scan_by_key_implILNS1_25lookback_scan_determinismE0ELb0ES3_N6thrust23THRUST_200600_302600_NS18transform_iteratorI9row_indexNS9_17counting_iteratorImNS9_11use_defaultESD_SD_EESD_SD_EENS9_6detail15normal_iteratorINS9_10device_ptrIiEEEESK_iNS9_4plusIvEENS9_8equal_toIvEEiEE10hipError_tPvRmT2_T3_T4_T5_mT6_T7_P12ihipStream_tbENKUlT_T0_E_clISt17integral_constantIbLb0EES15_EEDaS10_S11_EUlS10_E_NS1_11comp_targetILNS1_3genE9ELNS1_11target_archE1100ELNS1_3gpuE3ELNS1_3repE0EEENS1_30default_config_static_selectorELNS0_4arch9wavefront6targetE1EEEvT1_,"axG",@progbits,_ZN7rocprim17ROCPRIM_400000_NS6detail17trampoline_kernelINS0_14default_configENS1_27scan_by_key_config_selectorImiEEZZNS1_16scan_by_key_implILNS1_25lookback_scan_determinismE0ELb0ES3_N6thrust23THRUST_200600_302600_NS18transform_iteratorI9row_indexNS9_17counting_iteratorImNS9_11use_defaultESD_SD_EESD_SD_EENS9_6detail15normal_iteratorINS9_10device_ptrIiEEEESK_iNS9_4plusIvEENS9_8equal_toIvEEiEE10hipError_tPvRmT2_T3_T4_T5_mT6_T7_P12ihipStream_tbENKUlT_T0_E_clISt17integral_constantIbLb0EES15_EEDaS10_S11_EUlS10_E_NS1_11comp_targetILNS1_3genE9ELNS1_11target_archE1100ELNS1_3gpuE3ELNS1_3repE0EEENS1_30default_config_static_selectorELNS0_4arch9wavefront6targetE1EEEvT1_,comdat
	.protected	_ZN7rocprim17ROCPRIM_400000_NS6detail17trampoline_kernelINS0_14default_configENS1_27scan_by_key_config_selectorImiEEZZNS1_16scan_by_key_implILNS1_25lookback_scan_determinismE0ELb0ES3_N6thrust23THRUST_200600_302600_NS18transform_iteratorI9row_indexNS9_17counting_iteratorImNS9_11use_defaultESD_SD_EESD_SD_EENS9_6detail15normal_iteratorINS9_10device_ptrIiEEEESK_iNS9_4plusIvEENS9_8equal_toIvEEiEE10hipError_tPvRmT2_T3_T4_T5_mT6_T7_P12ihipStream_tbENKUlT_T0_E_clISt17integral_constantIbLb0EES15_EEDaS10_S11_EUlS10_E_NS1_11comp_targetILNS1_3genE9ELNS1_11target_archE1100ELNS1_3gpuE3ELNS1_3repE0EEENS1_30default_config_static_selectorELNS0_4arch9wavefront6targetE1EEEvT1_ ; -- Begin function _ZN7rocprim17ROCPRIM_400000_NS6detail17trampoline_kernelINS0_14default_configENS1_27scan_by_key_config_selectorImiEEZZNS1_16scan_by_key_implILNS1_25lookback_scan_determinismE0ELb0ES3_N6thrust23THRUST_200600_302600_NS18transform_iteratorI9row_indexNS9_17counting_iteratorImNS9_11use_defaultESD_SD_EESD_SD_EENS9_6detail15normal_iteratorINS9_10device_ptrIiEEEESK_iNS9_4plusIvEENS9_8equal_toIvEEiEE10hipError_tPvRmT2_T3_T4_T5_mT6_T7_P12ihipStream_tbENKUlT_T0_E_clISt17integral_constantIbLb0EES15_EEDaS10_S11_EUlS10_E_NS1_11comp_targetILNS1_3genE9ELNS1_11target_archE1100ELNS1_3gpuE3ELNS1_3repE0EEENS1_30default_config_static_selectorELNS0_4arch9wavefront6targetE1EEEvT1_
	.globl	_ZN7rocprim17ROCPRIM_400000_NS6detail17trampoline_kernelINS0_14default_configENS1_27scan_by_key_config_selectorImiEEZZNS1_16scan_by_key_implILNS1_25lookback_scan_determinismE0ELb0ES3_N6thrust23THRUST_200600_302600_NS18transform_iteratorI9row_indexNS9_17counting_iteratorImNS9_11use_defaultESD_SD_EESD_SD_EENS9_6detail15normal_iteratorINS9_10device_ptrIiEEEESK_iNS9_4plusIvEENS9_8equal_toIvEEiEE10hipError_tPvRmT2_T3_T4_T5_mT6_T7_P12ihipStream_tbENKUlT_T0_E_clISt17integral_constantIbLb0EES15_EEDaS10_S11_EUlS10_E_NS1_11comp_targetILNS1_3genE9ELNS1_11target_archE1100ELNS1_3gpuE3ELNS1_3repE0EEENS1_30default_config_static_selectorELNS0_4arch9wavefront6targetE1EEEvT1_
	.p2align	8
	.type	_ZN7rocprim17ROCPRIM_400000_NS6detail17trampoline_kernelINS0_14default_configENS1_27scan_by_key_config_selectorImiEEZZNS1_16scan_by_key_implILNS1_25lookback_scan_determinismE0ELb0ES3_N6thrust23THRUST_200600_302600_NS18transform_iteratorI9row_indexNS9_17counting_iteratorImNS9_11use_defaultESD_SD_EESD_SD_EENS9_6detail15normal_iteratorINS9_10device_ptrIiEEEESK_iNS9_4plusIvEENS9_8equal_toIvEEiEE10hipError_tPvRmT2_T3_T4_T5_mT6_T7_P12ihipStream_tbENKUlT_T0_E_clISt17integral_constantIbLb0EES15_EEDaS10_S11_EUlS10_E_NS1_11comp_targetILNS1_3genE9ELNS1_11target_archE1100ELNS1_3gpuE3ELNS1_3repE0EEENS1_30default_config_static_selectorELNS0_4arch9wavefront6targetE1EEEvT1_,@function
_ZN7rocprim17ROCPRIM_400000_NS6detail17trampoline_kernelINS0_14default_configENS1_27scan_by_key_config_selectorImiEEZZNS1_16scan_by_key_implILNS1_25lookback_scan_determinismE0ELb0ES3_N6thrust23THRUST_200600_302600_NS18transform_iteratorI9row_indexNS9_17counting_iteratorImNS9_11use_defaultESD_SD_EESD_SD_EENS9_6detail15normal_iteratorINS9_10device_ptrIiEEEESK_iNS9_4plusIvEENS9_8equal_toIvEEiEE10hipError_tPvRmT2_T3_T4_T5_mT6_T7_P12ihipStream_tbENKUlT_T0_E_clISt17integral_constantIbLb0EES15_EEDaS10_S11_EUlS10_E_NS1_11comp_targetILNS1_3genE9ELNS1_11target_archE1100ELNS1_3gpuE3ELNS1_3repE0EEENS1_30default_config_static_selectorELNS0_4arch9wavefront6targetE1EEEvT1_: ; @_ZN7rocprim17ROCPRIM_400000_NS6detail17trampoline_kernelINS0_14default_configENS1_27scan_by_key_config_selectorImiEEZZNS1_16scan_by_key_implILNS1_25lookback_scan_determinismE0ELb0ES3_N6thrust23THRUST_200600_302600_NS18transform_iteratorI9row_indexNS9_17counting_iteratorImNS9_11use_defaultESD_SD_EESD_SD_EENS9_6detail15normal_iteratorINS9_10device_ptrIiEEEESK_iNS9_4plusIvEENS9_8equal_toIvEEiEE10hipError_tPvRmT2_T3_T4_T5_mT6_T7_P12ihipStream_tbENKUlT_T0_E_clISt17integral_constantIbLb0EES15_EEDaS10_S11_EUlS10_E_NS1_11comp_targetILNS1_3genE9ELNS1_11target_archE1100ELNS1_3gpuE3ELNS1_3repE0EEENS1_30default_config_static_selectorELNS0_4arch9wavefront6targetE1EEEvT1_
; %bb.0:
	.section	.rodata,"a",@progbits
	.p2align	6, 0x0
	.amdhsa_kernel _ZN7rocprim17ROCPRIM_400000_NS6detail17trampoline_kernelINS0_14default_configENS1_27scan_by_key_config_selectorImiEEZZNS1_16scan_by_key_implILNS1_25lookback_scan_determinismE0ELb0ES3_N6thrust23THRUST_200600_302600_NS18transform_iteratorI9row_indexNS9_17counting_iteratorImNS9_11use_defaultESD_SD_EESD_SD_EENS9_6detail15normal_iteratorINS9_10device_ptrIiEEEESK_iNS9_4plusIvEENS9_8equal_toIvEEiEE10hipError_tPvRmT2_T3_T4_T5_mT6_T7_P12ihipStream_tbENKUlT_T0_E_clISt17integral_constantIbLb0EES15_EEDaS10_S11_EUlS10_E_NS1_11comp_targetILNS1_3genE9ELNS1_11target_archE1100ELNS1_3gpuE3ELNS1_3repE0EEENS1_30default_config_static_selectorELNS0_4arch9wavefront6targetE1EEEvT1_
		.amdhsa_group_segment_fixed_size 0
		.amdhsa_private_segment_fixed_size 0
		.amdhsa_kernarg_size 120
		.amdhsa_user_sgpr_count 6
		.amdhsa_user_sgpr_private_segment_buffer 1
		.amdhsa_user_sgpr_dispatch_ptr 0
		.amdhsa_user_sgpr_queue_ptr 0
		.amdhsa_user_sgpr_kernarg_segment_ptr 1
		.amdhsa_user_sgpr_dispatch_id 0
		.amdhsa_user_sgpr_flat_scratch_init 0
		.amdhsa_user_sgpr_private_segment_size 0
		.amdhsa_uses_dynamic_stack 0
		.amdhsa_system_sgpr_private_segment_wavefront_offset 0
		.amdhsa_system_sgpr_workgroup_id_x 1
		.amdhsa_system_sgpr_workgroup_id_y 0
		.amdhsa_system_sgpr_workgroup_id_z 0
		.amdhsa_system_sgpr_workgroup_info 0
		.amdhsa_system_vgpr_workitem_id 0
		.amdhsa_next_free_vgpr 1
		.amdhsa_next_free_sgpr 0
		.amdhsa_reserve_vcc 0
		.amdhsa_reserve_flat_scratch 0
		.amdhsa_float_round_mode_32 0
		.amdhsa_float_round_mode_16_64 0
		.amdhsa_float_denorm_mode_32 3
		.amdhsa_float_denorm_mode_16_64 3
		.amdhsa_dx10_clamp 1
		.amdhsa_ieee_mode 1
		.amdhsa_fp16_overflow 0
		.amdhsa_exception_fp_ieee_invalid_op 0
		.amdhsa_exception_fp_denorm_src 0
		.amdhsa_exception_fp_ieee_div_zero 0
		.amdhsa_exception_fp_ieee_overflow 0
		.amdhsa_exception_fp_ieee_underflow 0
		.amdhsa_exception_fp_ieee_inexact 0
		.amdhsa_exception_int_div_zero 0
	.end_amdhsa_kernel
	.section	.text._ZN7rocprim17ROCPRIM_400000_NS6detail17trampoline_kernelINS0_14default_configENS1_27scan_by_key_config_selectorImiEEZZNS1_16scan_by_key_implILNS1_25lookback_scan_determinismE0ELb0ES3_N6thrust23THRUST_200600_302600_NS18transform_iteratorI9row_indexNS9_17counting_iteratorImNS9_11use_defaultESD_SD_EESD_SD_EENS9_6detail15normal_iteratorINS9_10device_ptrIiEEEESK_iNS9_4plusIvEENS9_8equal_toIvEEiEE10hipError_tPvRmT2_T3_T4_T5_mT6_T7_P12ihipStream_tbENKUlT_T0_E_clISt17integral_constantIbLb0EES15_EEDaS10_S11_EUlS10_E_NS1_11comp_targetILNS1_3genE9ELNS1_11target_archE1100ELNS1_3gpuE3ELNS1_3repE0EEENS1_30default_config_static_selectorELNS0_4arch9wavefront6targetE1EEEvT1_,"axG",@progbits,_ZN7rocprim17ROCPRIM_400000_NS6detail17trampoline_kernelINS0_14default_configENS1_27scan_by_key_config_selectorImiEEZZNS1_16scan_by_key_implILNS1_25lookback_scan_determinismE0ELb0ES3_N6thrust23THRUST_200600_302600_NS18transform_iteratorI9row_indexNS9_17counting_iteratorImNS9_11use_defaultESD_SD_EESD_SD_EENS9_6detail15normal_iteratorINS9_10device_ptrIiEEEESK_iNS9_4plusIvEENS9_8equal_toIvEEiEE10hipError_tPvRmT2_T3_T4_T5_mT6_T7_P12ihipStream_tbENKUlT_T0_E_clISt17integral_constantIbLb0EES15_EEDaS10_S11_EUlS10_E_NS1_11comp_targetILNS1_3genE9ELNS1_11target_archE1100ELNS1_3gpuE3ELNS1_3repE0EEENS1_30default_config_static_selectorELNS0_4arch9wavefront6targetE1EEEvT1_,comdat
.Lfunc_end10:
	.size	_ZN7rocprim17ROCPRIM_400000_NS6detail17trampoline_kernelINS0_14default_configENS1_27scan_by_key_config_selectorImiEEZZNS1_16scan_by_key_implILNS1_25lookback_scan_determinismE0ELb0ES3_N6thrust23THRUST_200600_302600_NS18transform_iteratorI9row_indexNS9_17counting_iteratorImNS9_11use_defaultESD_SD_EESD_SD_EENS9_6detail15normal_iteratorINS9_10device_ptrIiEEEESK_iNS9_4plusIvEENS9_8equal_toIvEEiEE10hipError_tPvRmT2_T3_T4_T5_mT6_T7_P12ihipStream_tbENKUlT_T0_E_clISt17integral_constantIbLb0EES15_EEDaS10_S11_EUlS10_E_NS1_11comp_targetILNS1_3genE9ELNS1_11target_archE1100ELNS1_3gpuE3ELNS1_3repE0EEENS1_30default_config_static_selectorELNS0_4arch9wavefront6targetE1EEEvT1_, .Lfunc_end10-_ZN7rocprim17ROCPRIM_400000_NS6detail17trampoline_kernelINS0_14default_configENS1_27scan_by_key_config_selectorImiEEZZNS1_16scan_by_key_implILNS1_25lookback_scan_determinismE0ELb0ES3_N6thrust23THRUST_200600_302600_NS18transform_iteratorI9row_indexNS9_17counting_iteratorImNS9_11use_defaultESD_SD_EESD_SD_EENS9_6detail15normal_iteratorINS9_10device_ptrIiEEEESK_iNS9_4plusIvEENS9_8equal_toIvEEiEE10hipError_tPvRmT2_T3_T4_T5_mT6_T7_P12ihipStream_tbENKUlT_T0_E_clISt17integral_constantIbLb0EES15_EEDaS10_S11_EUlS10_E_NS1_11comp_targetILNS1_3genE9ELNS1_11target_archE1100ELNS1_3gpuE3ELNS1_3repE0EEENS1_30default_config_static_selectorELNS0_4arch9wavefront6targetE1EEEvT1_
                                        ; -- End function
	.set _ZN7rocprim17ROCPRIM_400000_NS6detail17trampoline_kernelINS0_14default_configENS1_27scan_by_key_config_selectorImiEEZZNS1_16scan_by_key_implILNS1_25lookback_scan_determinismE0ELb0ES3_N6thrust23THRUST_200600_302600_NS18transform_iteratorI9row_indexNS9_17counting_iteratorImNS9_11use_defaultESD_SD_EESD_SD_EENS9_6detail15normal_iteratorINS9_10device_ptrIiEEEESK_iNS9_4plusIvEENS9_8equal_toIvEEiEE10hipError_tPvRmT2_T3_T4_T5_mT6_T7_P12ihipStream_tbENKUlT_T0_E_clISt17integral_constantIbLb0EES15_EEDaS10_S11_EUlS10_E_NS1_11comp_targetILNS1_3genE9ELNS1_11target_archE1100ELNS1_3gpuE3ELNS1_3repE0EEENS1_30default_config_static_selectorELNS0_4arch9wavefront6targetE1EEEvT1_.num_vgpr, 0
	.set _ZN7rocprim17ROCPRIM_400000_NS6detail17trampoline_kernelINS0_14default_configENS1_27scan_by_key_config_selectorImiEEZZNS1_16scan_by_key_implILNS1_25lookback_scan_determinismE0ELb0ES3_N6thrust23THRUST_200600_302600_NS18transform_iteratorI9row_indexNS9_17counting_iteratorImNS9_11use_defaultESD_SD_EESD_SD_EENS9_6detail15normal_iteratorINS9_10device_ptrIiEEEESK_iNS9_4plusIvEENS9_8equal_toIvEEiEE10hipError_tPvRmT2_T3_T4_T5_mT6_T7_P12ihipStream_tbENKUlT_T0_E_clISt17integral_constantIbLb0EES15_EEDaS10_S11_EUlS10_E_NS1_11comp_targetILNS1_3genE9ELNS1_11target_archE1100ELNS1_3gpuE3ELNS1_3repE0EEENS1_30default_config_static_selectorELNS0_4arch9wavefront6targetE1EEEvT1_.num_agpr, 0
	.set _ZN7rocprim17ROCPRIM_400000_NS6detail17trampoline_kernelINS0_14default_configENS1_27scan_by_key_config_selectorImiEEZZNS1_16scan_by_key_implILNS1_25lookback_scan_determinismE0ELb0ES3_N6thrust23THRUST_200600_302600_NS18transform_iteratorI9row_indexNS9_17counting_iteratorImNS9_11use_defaultESD_SD_EESD_SD_EENS9_6detail15normal_iteratorINS9_10device_ptrIiEEEESK_iNS9_4plusIvEENS9_8equal_toIvEEiEE10hipError_tPvRmT2_T3_T4_T5_mT6_T7_P12ihipStream_tbENKUlT_T0_E_clISt17integral_constantIbLb0EES15_EEDaS10_S11_EUlS10_E_NS1_11comp_targetILNS1_3genE9ELNS1_11target_archE1100ELNS1_3gpuE3ELNS1_3repE0EEENS1_30default_config_static_selectorELNS0_4arch9wavefront6targetE1EEEvT1_.numbered_sgpr, 0
	.set _ZN7rocprim17ROCPRIM_400000_NS6detail17trampoline_kernelINS0_14default_configENS1_27scan_by_key_config_selectorImiEEZZNS1_16scan_by_key_implILNS1_25lookback_scan_determinismE0ELb0ES3_N6thrust23THRUST_200600_302600_NS18transform_iteratorI9row_indexNS9_17counting_iteratorImNS9_11use_defaultESD_SD_EESD_SD_EENS9_6detail15normal_iteratorINS9_10device_ptrIiEEEESK_iNS9_4plusIvEENS9_8equal_toIvEEiEE10hipError_tPvRmT2_T3_T4_T5_mT6_T7_P12ihipStream_tbENKUlT_T0_E_clISt17integral_constantIbLb0EES15_EEDaS10_S11_EUlS10_E_NS1_11comp_targetILNS1_3genE9ELNS1_11target_archE1100ELNS1_3gpuE3ELNS1_3repE0EEENS1_30default_config_static_selectorELNS0_4arch9wavefront6targetE1EEEvT1_.num_named_barrier, 0
	.set _ZN7rocprim17ROCPRIM_400000_NS6detail17trampoline_kernelINS0_14default_configENS1_27scan_by_key_config_selectorImiEEZZNS1_16scan_by_key_implILNS1_25lookback_scan_determinismE0ELb0ES3_N6thrust23THRUST_200600_302600_NS18transform_iteratorI9row_indexNS9_17counting_iteratorImNS9_11use_defaultESD_SD_EESD_SD_EENS9_6detail15normal_iteratorINS9_10device_ptrIiEEEESK_iNS9_4plusIvEENS9_8equal_toIvEEiEE10hipError_tPvRmT2_T3_T4_T5_mT6_T7_P12ihipStream_tbENKUlT_T0_E_clISt17integral_constantIbLb0EES15_EEDaS10_S11_EUlS10_E_NS1_11comp_targetILNS1_3genE9ELNS1_11target_archE1100ELNS1_3gpuE3ELNS1_3repE0EEENS1_30default_config_static_selectorELNS0_4arch9wavefront6targetE1EEEvT1_.private_seg_size, 0
	.set _ZN7rocprim17ROCPRIM_400000_NS6detail17trampoline_kernelINS0_14default_configENS1_27scan_by_key_config_selectorImiEEZZNS1_16scan_by_key_implILNS1_25lookback_scan_determinismE0ELb0ES3_N6thrust23THRUST_200600_302600_NS18transform_iteratorI9row_indexNS9_17counting_iteratorImNS9_11use_defaultESD_SD_EESD_SD_EENS9_6detail15normal_iteratorINS9_10device_ptrIiEEEESK_iNS9_4plusIvEENS9_8equal_toIvEEiEE10hipError_tPvRmT2_T3_T4_T5_mT6_T7_P12ihipStream_tbENKUlT_T0_E_clISt17integral_constantIbLb0EES15_EEDaS10_S11_EUlS10_E_NS1_11comp_targetILNS1_3genE9ELNS1_11target_archE1100ELNS1_3gpuE3ELNS1_3repE0EEENS1_30default_config_static_selectorELNS0_4arch9wavefront6targetE1EEEvT1_.uses_vcc, 0
	.set _ZN7rocprim17ROCPRIM_400000_NS6detail17trampoline_kernelINS0_14default_configENS1_27scan_by_key_config_selectorImiEEZZNS1_16scan_by_key_implILNS1_25lookback_scan_determinismE0ELb0ES3_N6thrust23THRUST_200600_302600_NS18transform_iteratorI9row_indexNS9_17counting_iteratorImNS9_11use_defaultESD_SD_EESD_SD_EENS9_6detail15normal_iteratorINS9_10device_ptrIiEEEESK_iNS9_4plusIvEENS9_8equal_toIvEEiEE10hipError_tPvRmT2_T3_T4_T5_mT6_T7_P12ihipStream_tbENKUlT_T0_E_clISt17integral_constantIbLb0EES15_EEDaS10_S11_EUlS10_E_NS1_11comp_targetILNS1_3genE9ELNS1_11target_archE1100ELNS1_3gpuE3ELNS1_3repE0EEENS1_30default_config_static_selectorELNS0_4arch9wavefront6targetE1EEEvT1_.uses_flat_scratch, 0
	.set _ZN7rocprim17ROCPRIM_400000_NS6detail17trampoline_kernelINS0_14default_configENS1_27scan_by_key_config_selectorImiEEZZNS1_16scan_by_key_implILNS1_25lookback_scan_determinismE0ELb0ES3_N6thrust23THRUST_200600_302600_NS18transform_iteratorI9row_indexNS9_17counting_iteratorImNS9_11use_defaultESD_SD_EESD_SD_EENS9_6detail15normal_iteratorINS9_10device_ptrIiEEEESK_iNS9_4plusIvEENS9_8equal_toIvEEiEE10hipError_tPvRmT2_T3_T4_T5_mT6_T7_P12ihipStream_tbENKUlT_T0_E_clISt17integral_constantIbLb0EES15_EEDaS10_S11_EUlS10_E_NS1_11comp_targetILNS1_3genE9ELNS1_11target_archE1100ELNS1_3gpuE3ELNS1_3repE0EEENS1_30default_config_static_selectorELNS0_4arch9wavefront6targetE1EEEvT1_.has_dyn_sized_stack, 0
	.set _ZN7rocprim17ROCPRIM_400000_NS6detail17trampoline_kernelINS0_14default_configENS1_27scan_by_key_config_selectorImiEEZZNS1_16scan_by_key_implILNS1_25lookback_scan_determinismE0ELb0ES3_N6thrust23THRUST_200600_302600_NS18transform_iteratorI9row_indexNS9_17counting_iteratorImNS9_11use_defaultESD_SD_EESD_SD_EENS9_6detail15normal_iteratorINS9_10device_ptrIiEEEESK_iNS9_4plusIvEENS9_8equal_toIvEEiEE10hipError_tPvRmT2_T3_T4_T5_mT6_T7_P12ihipStream_tbENKUlT_T0_E_clISt17integral_constantIbLb0EES15_EEDaS10_S11_EUlS10_E_NS1_11comp_targetILNS1_3genE9ELNS1_11target_archE1100ELNS1_3gpuE3ELNS1_3repE0EEENS1_30default_config_static_selectorELNS0_4arch9wavefront6targetE1EEEvT1_.has_recursion, 0
	.set _ZN7rocprim17ROCPRIM_400000_NS6detail17trampoline_kernelINS0_14default_configENS1_27scan_by_key_config_selectorImiEEZZNS1_16scan_by_key_implILNS1_25lookback_scan_determinismE0ELb0ES3_N6thrust23THRUST_200600_302600_NS18transform_iteratorI9row_indexNS9_17counting_iteratorImNS9_11use_defaultESD_SD_EESD_SD_EENS9_6detail15normal_iteratorINS9_10device_ptrIiEEEESK_iNS9_4plusIvEENS9_8equal_toIvEEiEE10hipError_tPvRmT2_T3_T4_T5_mT6_T7_P12ihipStream_tbENKUlT_T0_E_clISt17integral_constantIbLb0EES15_EEDaS10_S11_EUlS10_E_NS1_11comp_targetILNS1_3genE9ELNS1_11target_archE1100ELNS1_3gpuE3ELNS1_3repE0EEENS1_30default_config_static_selectorELNS0_4arch9wavefront6targetE1EEEvT1_.has_indirect_call, 0
	.section	.AMDGPU.csdata,"",@progbits
; Kernel info:
; codeLenInByte = 0
; TotalNumSgprs: 4
; NumVgprs: 0
; ScratchSize: 0
; MemoryBound: 0
; FloatMode: 240
; IeeeMode: 1
; LDSByteSize: 0 bytes/workgroup (compile time only)
; SGPRBlocks: 0
; VGPRBlocks: 0
; NumSGPRsForWavesPerEU: 4
; NumVGPRsForWavesPerEU: 1
; Occupancy: 10
; WaveLimiterHint : 0
; COMPUTE_PGM_RSRC2:SCRATCH_EN: 0
; COMPUTE_PGM_RSRC2:USER_SGPR: 6
; COMPUTE_PGM_RSRC2:TRAP_HANDLER: 0
; COMPUTE_PGM_RSRC2:TGID_X_EN: 1
; COMPUTE_PGM_RSRC2:TGID_Y_EN: 0
; COMPUTE_PGM_RSRC2:TGID_Z_EN: 0
; COMPUTE_PGM_RSRC2:TIDIG_COMP_CNT: 0
	.section	.text._ZN7rocprim17ROCPRIM_400000_NS6detail17trampoline_kernelINS0_14default_configENS1_27scan_by_key_config_selectorImiEEZZNS1_16scan_by_key_implILNS1_25lookback_scan_determinismE0ELb0ES3_N6thrust23THRUST_200600_302600_NS18transform_iteratorI9row_indexNS9_17counting_iteratorImNS9_11use_defaultESD_SD_EESD_SD_EENS9_6detail15normal_iteratorINS9_10device_ptrIiEEEESK_iNS9_4plusIvEENS9_8equal_toIvEEiEE10hipError_tPvRmT2_T3_T4_T5_mT6_T7_P12ihipStream_tbENKUlT_T0_E_clISt17integral_constantIbLb0EES15_EEDaS10_S11_EUlS10_E_NS1_11comp_targetILNS1_3genE8ELNS1_11target_archE1030ELNS1_3gpuE2ELNS1_3repE0EEENS1_30default_config_static_selectorELNS0_4arch9wavefront6targetE1EEEvT1_,"axG",@progbits,_ZN7rocprim17ROCPRIM_400000_NS6detail17trampoline_kernelINS0_14default_configENS1_27scan_by_key_config_selectorImiEEZZNS1_16scan_by_key_implILNS1_25lookback_scan_determinismE0ELb0ES3_N6thrust23THRUST_200600_302600_NS18transform_iteratorI9row_indexNS9_17counting_iteratorImNS9_11use_defaultESD_SD_EESD_SD_EENS9_6detail15normal_iteratorINS9_10device_ptrIiEEEESK_iNS9_4plusIvEENS9_8equal_toIvEEiEE10hipError_tPvRmT2_T3_T4_T5_mT6_T7_P12ihipStream_tbENKUlT_T0_E_clISt17integral_constantIbLb0EES15_EEDaS10_S11_EUlS10_E_NS1_11comp_targetILNS1_3genE8ELNS1_11target_archE1030ELNS1_3gpuE2ELNS1_3repE0EEENS1_30default_config_static_selectorELNS0_4arch9wavefront6targetE1EEEvT1_,comdat
	.protected	_ZN7rocprim17ROCPRIM_400000_NS6detail17trampoline_kernelINS0_14default_configENS1_27scan_by_key_config_selectorImiEEZZNS1_16scan_by_key_implILNS1_25lookback_scan_determinismE0ELb0ES3_N6thrust23THRUST_200600_302600_NS18transform_iteratorI9row_indexNS9_17counting_iteratorImNS9_11use_defaultESD_SD_EESD_SD_EENS9_6detail15normal_iteratorINS9_10device_ptrIiEEEESK_iNS9_4plusIvEENS9_8equal_toIvEEiEE10hipError_tPvRmT2_T3_T4_T5_mT6_T7_P12ihipStream_tbENKUlT_T0_E_clISt17integral_constantIbLb0EES15_EEDaS10_S11_EUlS10_E_NS1_11comp_targetILNS1_3genE8ELNS1_11target_archE1030ELNS1_3gpuE2ELNS1_3repE0EEENS1_30default_config_static_selectorELNS0_4arch9wavefront6targetE1EEEvT1_ ; -- Begin function _ZN7rocprim17ROCPRIM_400000_NS6detail17trampoline_kernelINS0_14default_configENS1_27scan_by_key_config_selectorImiEEZZNS1_16scan_by_key_implILNS1_25lookback_scan_determinismE0ELb0ES3_N6thrust23THRUST_200600_302600_NS18transform_iteratorI9row_indexNS9_17counting_iteratorImNS9_11use_defaultESD_SD_EESD_SD_EENS9_6detail15normal_iteratorINS9_10device_ptrIiEEEESK_iNS9_4plusIvEENS9_8equal_toIvEEiEE10hipError_tPvRmT2_T3_T4_T5_mT6_T7_P12ihipStream_tbENKUlT_T0_E_clISt17integral_constantIbLb0EES15_EEDaS10_S11_EUlS10_E_NS1_11comp_targetILNS1_3genE8ELNS1_11target_archE1030ELNS1_3gpuE2ELNS1_3repE0EEENS1_30default_config_static_selectorELNS0_4arch9wavefront6targetE1EEEvT1_
	.globl	_ZN7rocprim17ROCPRIM_400000_NS6detail17trampoline_kernelINS0_14default_configENS1_27scan_by_key_config_selectorImiEEZZNS1_16scan_by_key_implILNS1_25lookback_scan_determinismE0ELb0ES3_N6thrust23THRUST_200600_302600_NS18transform_iteratorI9row_indexNS9_17counting_iteratorImNS9_11use_defaultESD_SD_EESD_SD_EENS9_6detail15normal_iteratorINS9_10device_ptrIiEEEESK_iNS9_4plusIvEENS9_8equal_toIvEEiEE10hipError_tPvRmT2_T3_T4_T5_mT6_T7_P12ihipStream_tbENKUlT_T0_E_clISt17integral_constantIbLb0EES15_EEDaS10_S11_EUlS10_E_NS1_11comp_targetILNS1_3genE8ELNS1_11target_archE1030ELNS1_3gpuE2ELNS1_3repE0EEENS1_30default_config_static_selectorELNS0_4arch9wavefront6targetE1EEEvT1_
	.p2align	8
	.type	_ZN7rocprim17ROCPRIM_400000_NS6detail17trampoline_kernelINS0_14default_configENS1_27scan_by_key_config_selectorImiEEZZNS1_16scan_by_key_implILNS1_25lookback_scan_determinismE0ELb0ES3_N6thrust23THRUST_200600_302600_NS18transform_iteratorI9row_indexNS9_17counting_iteratorImNS9_11use_defaultESD_SD_EESD_SD_EENS9_6detail15normal_iteratorINS9_10device_ptrIiEEEESK_iNS9_4plusIvEENS9_8equal_toIvEEiEE10hipError_tPvRmT2_T3_T4_T5_mT6_T7_P12ihipStream_tbENKUlT_T0_E_clISt17integral_constantIbLb0EES15_EEDaS10_S11_EUlS10_E_NS1_11comp_targetILNS1_3genE8ELNS1_11target_archE1030ELNS1_3gpuE2ELNS1_3repE0EEENS1_30default_config_static_selectorELNS0_4arch9wavefront6targetE1EEEvT1_,@function
_ZN7rocprim17ROCPRIM_400000_NS6detail17trampoline_kernelINS0_14default_configENS1_27scan_by_key_config_selectorImiEEZZNS1_16scan_by_key_implILNS1_25lookback_scan_determinismE0ELb0ES3_N6thrust23THRUST_200600_302600_NS18transform_iteratorI9row_indexNS9_17counting_iteratorImNS9_11use_defaultESD_SD_EESD_SD_EENS9_6detail15normal_iteratorINS9_10device_ptrIiEEEESK_iNS9_4plusIvEENS9_8equal_toIvEEiEE10hipError_tPvRmT2_T3_T4_T5_mT6_T7_P12ihipStream_tbENKUlT_T0_E_clISt17integral_constantIbLb0EES15_EEDaS10_S11_EUlS10_E_NS1_11comp_targetILNS1_3genE8ELNS1_11target_archE1030ELNS1_3gpuE2ELNS1_3repE0EEENS1_30default_config_static_selectorELNS0_4arch9wavefront6targetE1EEEvT1_: ; @_ZN7rocprim17ROCPRIM_400000_NS6detail17trampoline_kernelINS0_14default_configENS1_27scan_by_key_config_selectorImiEEZZNS1_16scan_by_key_implILNS1_25lookback_scan_determinismE0ELb0ES3_N6thrust23THRUST_200600_302600_NS18transform_iteratorI9row_indexNS9_17counting_iteratorImNS9_11use_defaultESD_SD_EESD_SD_EENS9_6detail15normal_iteratorINS9_10device_ptrIiEEEESK_iNS9_4plusIvEENS9_8equal_toIvEEiEE10hipError_tPvRmT2_T3_T4_T5_mT6_T7_P12ihipStream_tbENKUlT_T0_E_clISt17integral_constantIbLb0EES15_EEDaS10_S11_EUlS10_E_NS1_11comp_targetILNS1_3genE8ELNS1_11target_archE1030ELNS1_3gpuE2ELNS1_3repE0EEENS1_30default_config_static_selectorELNS0_4arch9wavefront6targetE1EEEvT1_
; %bb.0:
	.section	.rodata,"a",@progbits
	.p2align	6, 0x0
	.amdhsa_kernel _ZN7rocprim17ROCPRIM_400000_NS6detail17trampoline_kernelINS0_14default_configENS1_27scan_by_key_config_selectorImiEEZZNS1_16scan_by_key_implILNS1_25lookback_scan_determinismE0ELb0ES3_N6thrust23THRUST_200600_302600_NS18transform_iteratorI9row_indexNS9_17counting_iteratorImNS9_11use_defaultESD_SD_EESD_SD_EENS9_6detail15normal_iteratorINS9_10device_ptrIiEEEESK_iNS9_4plusIvEENS9_8equal_toIvEEiEE10hipError_tPvRmT2_T3_T4_T5_mT6_T7_P12ihipStream_tbENKUlT_T0_E_clISt17integral_constantIbLb0EES15_EEDaS10_S11_EUlS10_E_NS1_11comp_targetILNS1_3genE8ELNS1_11target_archE1030ELNS1_3gpuE2ELNS1_3repE0EEENS1_30default_config_static_selectorELNS0_4arch9wavefront6targetE1EEEvT1_
		.amdhsa_group_segment_fixed_size 0
		.amdhsa_private_segment_fixed_size 0
		.amdhsa_kernarg_size 120
		.amdhsa_user_sgpr_count 6
		.amdhsa_user_sgpr_private_segment_buffer 1
		.amdhsa_user_sgpr_dispatch_ptr 0
		.amdhsa_user_sgpr_queue_ptr 0
		.amdhsa_user_sgpr_kernarg_segment_ptr 1
		.amdhsa_user_sgpr_dispatch_id 0
		.amdhsa_user_sgpr_flat_scratch_init 0
		.amdhsa_user_sgpr_private_segment_size 0
		.amdhsa_uses_dynamic_stack 0
		.amdhsa_system_sgpr_private_segment_wavefront_offset 0
		.amdhsa_system_sgpr_workgroup_id_x 1
		.amdhsa_system_sgpr_workgroup_id_y 0
		.amdhsa_system_sgpr_workgroup_id_z 0
		.amdhsa_system_sgpr_workgroup_info 0
		.amdhsa_system_vgpr_workitem_id 0
		.amdhsa_next_free_vgpr 1
		.amdhsa_next_free_sgpr 0
		.amdhsa_reserve_vcc 0
		.amdhsa_reserve_flat_scratch 0
		.amdhsa_float_round_mode_32 0
		.amdhsa_float_round_mode_16_64 0
		.amdhsa_float_denorm_mode_32 3
		.amdhsa_float_denorm_mode_16_64 3
		.amdhsa_dx10_clamp 1
		.amdhsa_ieee_mode 1
		.amdhsa_fp16_overflow 0
		.amdhsa_exception_fp_ieee_invalid_op 0
		.amdhsa_exception_fp_denorm_src 0
		.amdhsa_exception_fp_ieee_div_zero 0
		.amdhsa_exception_fp_ieee_overflow 0
		.amdhsa_exception_fp_ieee_underflow 0
		.amdhsa_exception_fp_ieee_inexact 0
		.amdhsa_exception_int_div_zero 0
	.end_amdhsa_kernel
	.section	.text._ZN7rocprim17ROCPRIM_400000_NS6detail17trampoline_kernelINS0_14default_configENS1_27scan_by_key_config_selectorImiEEZZNS1_16scan_by_key_implILNS1_25lookback_scan_determinismE0ELb0ES3_N6thrust23THRUST_200600_302600_NS18transform_iteratorI9row_indexNS9_17counting_iteratorImNS9_11use_defaultESD_SD_EESD_SD_EENS9_6detail15normal_iteratorINS9_10device_ptrIiEEEESK_iNS9_4plusIvEENS9_8equal_toIvEEiEE10hipError_tPvRmT2_T3_T4_T5_mT6_T7_P12ihipStream_tbENKUlT_T0_E_clISt17integral_constantIbLb0EES15_EEDaS10_S11_EUlS10_E_NS1_11comp_targetILNS1_3genE8ELNS1_11target_archE1030ELNS1_3gpuE2ELNS1_3repE0EEENS1_30default_config_static_selectorELNS0_4arch9wavefront6targetE1EEEvT1_,"axG",@progbits,_ZN7rocprim17ROCPRIM_400000_NS6detail17trampoline_kernelINS0_14default_configENS1_27scan_by_key_config_selectorImiEEZZNS1_16scan_by_key_implILNS1_25lookback_scan_determinismE0ELb0ES3_N6thrust23THRUST_200600_302600_NS18transform_iteratorI9row_indexNS9_17counting_iteratorImNS9_11use_defaultESD_SD_EESD_SD_EENS9_6detail15normal_iteratorINS9_10device_ptrIiEEEESK_iNS9_4plusIvEENS9_8equal_toIvEEiEE10hipError_tPvRmT2_T3_T4_T5_mT6_T7_P12ihipStream_tbENKUlT_T0_E_clISt17integral_constantIbLb0EES15_EEDaS10_S11_EUlS10_E_NS1_11comp_targetILNS1_3genE8ELNS1_11target_archE1030ELNS1_3gpuE2ELNS1_3repE0EEENS1_30default_config_static_selectorELNS0_4arch9wavefront6targetE1EEEvT1_,comdat
.Lfunc_end11:
	.size	_ZN7rocprim17ROCPRIM_400000_NS6detail17trampoline_kernelINS0_14default_configENS1_27scan_by_key_config_selectorImiEEZZNS1_16scan_by_key_implILNS1_25lookback_scan_determinismE0ELb0ES3_N6thrust23THRUST_200600_302600_NS18transform_iteratorI9row_indexNS9_17counting_iteratorImNS9_11use_defaultESD_SD_EESD_SD_EENS9_6detail15normal_iteratorINS9_10device_ptrIiEEEESK_iNS9_4plusIvEENS9_8equal_toIvEEiEE10hipError_tPvRmT2_T3_T4_T5_mT6_T7_P12ihipStream_tbENKUlT_T0_E_clISt17integral_constantIbLb0EES15_EEDaS10_S11_EUlS10_E_NS1_11comp_targetILNS1_3genE8ELNS1_11target_archE1030ELNS1_3gpuE2ELNS1_3repE0EEENS1_30default_config_static_selectorELNS0_4arch9wavefront6targetE1EEEvT1_, .Lfunc_end11-_ZN7rocprim17ROCPRIM_400000_NS6detail17trampoline_kernelINS0_14default_configENS1_27scan_by_key_config_selectorImiEEZZNS1_16scan_by_key_implILNS1_25lookback_scan_determinismE0ELb0ES3_N6thrust23THRUST_200600_302600_NS18transform_iteratorI9row_indexNS9_17counting_iteratorImNS9_11use_defaultESD_SD_EESD_SD_EENS9_6detail15normal_iteratorINS9_10device_ptrIiEEEESK_iNS9_4plusIvEENS9_8equal_toIvEEiEE10hipError_tPvRmT2_T3_T4_T5_mT6_T7_P12ihipStream_tbENKUlT_T0_E_clISt17integral_constantIbLb0EES15_EEDaS10_S11_EUlS10_E_NS1_11comp_targetILNS1_3genE8ELNS1_11target_archE1030ELNS1_3gpuE2ELNS1_3repE0EEENS1_30default_config_static_selectorELNS0_4arch9wavefront6targetE1EEEvT1_
                                        ; -- End function
	.set _ZN7rocprim17ROCPRIM_400000_NS6detail17trampoline_kernelINS0_14default_configENS1_27scan_by_key_config_selectorImiEEZZNS1_16scan_by_key_implILNS1_25lookback_scan_determinismE0ELb0ES3_N6thrust23THRUST_200600_302600_NS18transform_iteratorI9row_indexNS9_17counting_iteratorImNS9_11use_defaultESD_SD_EESD_SD_EENS9_6detail15normal_iteratorINS9_10device_ptrIiEEEESK_iNS9_4plusIvEENS9_8equal_toIvEEiEE10hipError_tPvRmT2_T3_T4_T5_mT6_T7_P12ihipStream_tbENKUlT_T0_E_clISt17integral_constantIbLb0EES15_EEDaS10_S11_EUlS10_E_NS1_11comp_targetILNS1_3genE8ELNS1_11target_archE1030ELNS1_3gpuE2ELNS1_3repE0EEENS1_30default_config_static_selectorELNS0_4arch9wavefront6targetE1EEEvT1_.num_vgpr, 0
	.set _ZN7rocprim17ROCPRIM_400000_NS6detail17trampoline_kernelINS0_14default_configENS1_27scan_by_key_config_selectorImiEEZZNS1_16scan_by_key_implILNS1_25lookback_scan_determinismE0ELb0ES3_N6thrust23THRUST_200600_302600_NS18transform_iteratorI9row_indexNS9_17counting_iteratorImNS9_11use_defaultESD_SD_EESD_SD_EENS9_6detail15normal_iteratorINS9_10device_ptrIiEEEESK_iNS9_4plusIvEENS9_8equal_toIvEEiEE10hipError_tPvRmT2_T3_T4_T5_mT6_T7_P12ihipStream_tbENKUlT_T0_E_clISt17integral_constantIbLb0EES15_EEDaS10_S11_EUlS10_E_NS1_11comp_targetILNS1_3genE8ELNS1_11target_archE1030ELNS1_3gpuE2ELNS1_3repE0EEENS1_30default_config_static_selectorELNS0_4arch9wavefront6targetE1EEEvT1_.num_agpr, 0
	.set _ZN7rocprim17ROCPRIM_400000_NS6detail17trampoline_kernelINS0_14default_configENS1_27scan_by_key_config_selectorImiEEZZNS1_16scan_by_key_implILNS1_25lookback_scan_determinismE0ELb0ES3_N6thrust23THRUST_200600_302600_NS18transform_iteratorI9row_indexNS9_17counting_iteratorImNS9_11use_defaultESD_SD_EESD_SD_EENS9_6detail15normal_iteratorINS9_10device_ptrIiEEEESK_iNS9_4plusIvEENS9_8equal_toIvEEiEE10hipError_tPvRmT2_T3_T4_T5_mT6_T7_P12ihipStream_tbENKUlT_T0_E_clISt17integral_constantIbLb0EES15_EEDaS10_S11_EUlS10_E_NS1_11comp_targetILNS1_3genE8ELNS1_11target_archE1030ELNS1_3gpuE2ELNS1_3repE0EEENS1_30default_config_static_selectorELNS0_4arch9wavefront6targetE1EEEvT1_.numbered_sgpr, 0
	.set _ZN7rocprim17ROCPRIM_400000_NS6detail17trampoline_kernelINS0_14default_configENS1_27scan_by_key_config_selectorImiEEZZNS1_16scan_by_key_implILNS1_25lookback_scan_determinismE0ELb0ES3_N6thrust23THRUST_200600_302600_NS18transform_iteratorI9row_indexNS9_17counting_iteratorImNS9_11use_defaultESD_SD_EESD_SD_EENS9_6detail15normal_iteratorINS9_10device_ptrIiEEEESK_iNS9_4plusIvEENS9_8equal_toIvEEiEE10hipError_tPvRmT2_T3_T4_T5_mT6_T7_P12ihipStream_tbENKUlT_T0_E_clISt17integral_constantIbLb0EES15_EEDaS10_S11_EUlS10_E_NS1_11comp_targetILNS1_3genE8ELNS1_11target_archE1030ELNS1_3gpuE2ELNS1_3repE0EEENS1_30default_config_static_selectorELNS0_4arch9wavefront6targetE1EEEvT1_.num_named_barrier, 0
	.set _ZN7rocprim17ROCPRIM_400000_NS6detail17trampoline_kernelINS0_14default_configENS1_27scan_by_key_config_selectorImiEEZZNS1_16scan_by_key_implILNS1_25lookback_scan_determinismE0ELb0ES3_N6thrust23THRUST_200600_302600_NS18transform_iteratorI9row_indexNS9_17counting_iteratorImNS9_11use_defaultESD_SD_EESD_SD_EENS9_6detail15normal_iteratorINS9_10device_ptrIiEEEESK_iNS9_4plusIvEENS9_8equal_toIvEEiEE10hipError_tPvRmT2_T3_T4_T5_mT6_T7_P12ihipStream_tbENKUlT_T0_E_clISt17integral_constantIbLb0EES15_EEDaS10_S11_EUlS10_E_NS1_11comp_targetILNS1_3genE8ELNS1_11target_archE1030ELNS1_3gpuE2ELNS1_3repE0EEENS1_30default_config_static_selectorELNS0_4arch9wavefront6targetE1EEEvT1_.private_seg_size, 0
	.set _ZN7rocprim17ROCPRIM_400000_NS6detail17trampoline_kernelINS0_14default_configENS1_27scan_by_key_config_selectorImiEEZZNS1_16scan_by_key_implILNS1_25lookback_scan_determinismE0ELb0ES3_N6thrust23THRUST_200600_302600_NS18transform_iteratorI9row_indexNS9_17counting_iteratorImNS9_11use_defaultESD_SD_EESD_SD_EENS9_6detail15normal_iteratorINS9_10device_ptrIiEEEESK_iNS9_4plusIvEENS9_8equal_toIvEEiEE10hipError_tPvRmT2_T3_T4_T5_mT6_T7_P12ihipStream_tbENKUlT_T0_E_clISt17integral_constantIbLb0EES15_EEDaS10_S11_EUlS10_E_NS1_11comp_targetILNS1_3genE8ELNS1_11target_archE1030ELNS1_3gpuE2ELNS1_3repE0EEENS1_30default_config_static_selectorELNS0_4arch9wavefront6targetE1EEEvT1_.uses_vcc, 0
	.set _ZN7rocprim17ROCPRIM_400000_NS6detail17trampoline_kernelINS0_14default_configENS1_27scan_by_key_config_selectorImiEEZZNS1_16scan_by_key_implILNS1_25lookback_scan_determinismE0ELb0ES3_N6thrust23THRUST_200600_302600_NS18transform_iteratorI9row_indexNS9_17counting_iteratorImNS9_11use_defaultESD_SD_EESD_SD_EENS9_6detail15normal_iteratorINS9_10device_ptrIiEEEESK_iNS9_4plusIvEENS9_8equal_toIvEEiEE10hipError_tPvRmT2_T3_T4_T5_mT6_T7_P12ihipStream_tbENKUlT_T0_E_clISt17integral_constantIbLb0EES15_EEDaS10_S11_EUlS10_E_NS1_11comp_targetILNS1_3genE8ELNS1_11target_archE1030ELNS1_3gpuE2ELNS1_3repE0EEENS1_30default_config_static_selectorELNS0_4arch9wavefront6targetE1EEEvT1_.uses_flat_scratch, 0
	.set _ZN7rocprim17ROCPRIM_400000_NS6detail17trampoline_kernelINS0_14default_configENS1_27scan_by_key_config_selectorImiEEZZNS1_16scan_by_key_implILNS1_25lookback_scan_determinismE0ELb0ES3_N6thrust23THRUST_200600_302600_NS18transform_iteratorI9row_indexNS9_17counting_iteratorImNS9_11use_defaultESD_SD_EESD_SD_EENS9_6detail15normal_iteratorINS9_10device_ptrIiEEEESK_iNS9_4plusIvEENS9_8equal_toIvEEiEE10hipError_tPvRmT2_T3_T4_T5_mT6_T7_P12ihipStream_tbENKUlT_T0_E_clISt17integral_constantIbLb0EES15_EEDaS10_S11_EUlS10_E_NS1_11comp_targetILNS1_3genE8ELNS1_11target_archE1030ELNS1_3gpuE2ELNS1_3repE0EEENS1_30default_config_static_selectorELNS0_4arch9wavefront6targetE1EEEvT1_.has_dyn_sized_stack, 0
	.set _ZN7rocprim17ROCPRIM_400000_NS6detail17trampoline_kernelINS0_14default_configENS1_27scan_by_key_config_selectorImiEEZZNS1_16scan_by_key_implILNS1_25lookback_scan_determinismE0ELb0ES3_N6thrust23THRUST_200600_302600_NS18transform_iteratorI9row_indexNS9_17counting_iteratorImNS9_11use_defaultESD_SD_EESD_SD_EENS9_6detail15normal_iteratorINS9_10device_ptrIiEEEESK_iNS9_4plusIvEENS9_8equal_toIvEEiEE10hipError_tPvRmT2_T3_T4_T5_mT6_T7_P12ihipStream_tbENKUlT_T0_E_clISt17integral_constantIbLb0EES15_EEDaS10_S11_EUlS10_E_NS1_11comp_targetILNS1_3genE8ELNS1_11target_archE1030ELNS1_3gpuE2ELNS1_3repE0EEENS1_30default_config_static_selectorELNS0_4arch9wavefront6targetE1EEEvT1_.has_recursion, 0
	.set _ZN7rocprim17ROCPRIM_400000_NS6detail17trampoline_kernelINS0_14default_configENS1_27scan_by_key_config_selectorImiEEZZNS1_16scan_by_key_implILNS1_25lookback_scan_determinismE0ELb0ES3_N6thrust23THRUST_200600_302600_NS18transform_iteratorI9row_indexNS9_17counting_iteratorImNS9_11use_defaultESD_SD_EESD_SD_EENS9_6detail15normal_iteratorINS9_10device_ptrIiEEEESK_iNS9_4plusIvEENS9_8equal_toIvEEiEE10hipError_tPvRmT2_T3_T4_T5_mT6_T7_P12ihipStream_tbENKUlT_T0_E_clISt17integral_constantIbLb0EES15_EEDaS10_S11_EUlS10_E_NS1_11comp_targetILNS1_3genE8ELNS1_11target_archE1030ELNS1_3gpuE2ELNS1_3repE0EEENS1_30default_config_static_selectorELNS0_4arch9wavefront6targetE1EEEvT1_.has_indirect_call, 0
	.section	.AMDGPU.csdata,"",@progbits
; Kernel info:
; codeLenInByte = 0
; TotalNumSgprs: 4
; NumVgprs: 0
; ScratchSize: 0
; MemoryBound: 0
; FloatMode: 240
; IeeeMode: 1
; LDSByteSize: 0 bytes/workgroup (compile time only)
; SGPRBlocks: 0
; VGPRBlocks: 0
; NumSGPRsForWavesPerEU: 4
; NumVGPRsForWavesPerEU: 1
; Occupancy: 10
; WaveLimiterHint : 0
; COMPUTE_PGM_RSRC2:SCRATCH_EN: 0
; COMPUTE_PGM_RSRC2:USER_SGPR: 6
; COMPUTE_PGM_RSRC2:TRAP_HANDLER: 0
; COMPUTE_PGM_RSRC2:TGID_X_EN: 1
; COMPUTE_PGM_RSRC2:TGID_Y_EN: 0
; COMPUTE_PGM_RSRC2:TGID_Z_EN: 0
; COMPUTE_PGM_RSRC2:TIDIG_COMP_CNT: 0
	.section	.text._ZN7rocprim17ROCPRIM_400000_NS6detail30init_device_scan_by_key_kernelINS1_19lookback_scan_stateINS0_5tupleIJibEEELb1ELb1EEEN6thrust23THRUST_200600_302600_NS18transform_iteratorI9row_indexNS8_17counting_iteratorImNS8_11use_defaultESC_SC_EESC_SC_EEjNS1_16block_id_wrapperIjLb1EEEEEvT_jjPNSH_10value_typeET0_PNSt15iterator_traitsISK_E10value_typeEmT1_T2_,"axG",@progbits,_ZN7rocprim17ROCPRIM_400000_NS6detail30init_device_scan_by_key_kernelINS1_19lookback_scan_stateINS0_5tupleIJibEEELb1ELb1EEEN6thrust23THRUST_200600_302600_NS18transform_iteratorI9row_indexNS8_17counting_iteratorImNS8_11use_defaultESC_SC_EESC_SC_EEjNS1_16block_id_wrapperIjLb1EEEEEvT_jjPNSH_10value_typeET0_PNSt15iterator_traitsISK_E10value_typeEmT1_T2_,comdat
	.protected	_ZN7rocprim17ROCPRIM_400000_NS6detail30init_device_scan_by_key_kernelINS1_19lookback_scan_stateINS0_5tupleIJibEEELb1ELb1EEEN6thrust23THRUST_200600_302600_NS18transform_iteratorI9row_indexNS8_17counting_iteratorImNS8_11use_defaultESC_SC_EESC_SC_EEjNS1_16block_id_wrapperIjLb1EEEEEvT_jjPNSH_10value_typeET0_PNSt15iterator_traitsISK_E10value_typeEmT1_T2_ ; -- Begin function _ZN7rocprim17ROCPRIM_400000_NS6detail30init_device_scan_by_key_kernelINS1_19lookback_scan_stateINS0_5tupleIJibEEELb1ELb1EEEN6thrust23THRUST_200600_302600_NS18transform_iteratorI9row_indexNS8_17counting_iteratorImNS8_11use_defaultESC_SC_EESC_SC_EEjNS1_16block_id_wrapperIjLb1EEEEEvT_jjPNSH_10value_typeET0_PNSt15iterator_traitsISK_E10value_typeEmT1_T2_
	.globl	_ZN7rocprim17ROCPRIM_400000_NS6detail30init_device_scan_by_key_kernelINS1_19lookback_scan_stateINS0_5tupleIJibEEELb1ELb1EEEN6thrust23THRUST_200600_302600_NS18transform_iteratorI9row_indexNS8_17counting_iteratorImNS8_11use_defaultESC_SC_EESC_SC_EEjNS1_16block_id_wrapperIjLb1EEEEEvT_jjPNSH_10value_typeET0_PNSt15iterator_traitsISK_E10value_typeEmT1_T2_
	.p2align	8
	.type	_ZN7rocprim17ROCPRIM_400000_NS6detail30init_device_scan_by_key_kernelINS1_19lookback_scan_stateINS0_5tupleIJibEEELb1ELb1EEEN6thrust23THRUST_200600_302600_NS18transform_iteratorI9row_indexNS8_17counting_iteratorImNS8_11use_defaultESC_SC_EESC_SC_EEjNS1_16block_id_wrapperIjLb1EEEEEvT_jjPNSH_10value_typeET0_PNSt15iterator_traitsISK_E10value_typeEmT1_T2_,@function
_ZN7rocprim17ROCPRIM_400000_NS6detail30init_device_scan_by_key_kernelINS1_19lookback_scan_stateINS0_5tupleIJibEEELb1ELb1EEEN6thrust23THRUST_200600_302600_NS18transform_iteratorI9row_indexNS8_17counting_iteratorImNS8_11use_defaultESC_SC_EESC_SC_EEjNS1_16block_id_wrapperIjLb1EEEEEvT_jjPNSH_10value_typeET0_PNSt15iterator_traitsISK_E10value_typeEmT1_T2_: ; @_ZN7rocprim17ROCPRIM_400000_NS6detail30init_device_scan_by_key_kernelINS1_19lookback_scan_stateINS0_5tupleIJibEEELb1ELb1EEEN6thrust23THRUST_200600_302600_NS18transform_iteratorI9row_indexNS8_17counting_iteratorImNS8_11use_defaultESC_SC_EESC_SC_EEjNS1_16block_id_wrapperIjLb1EEEEEvT_jjPNSH_10value_typeET0_PNSt15iterator_traitsISK_E10value_typeEmT1_T2_
; %bb.0:
	s_load_dword s0, s[4:5], 0x54
	s_load_dwordx8 s[8:15], s[4:5], 0x0
	s_load_dword s18, s[4:5], 0x48
	s_waitcnt lgkmcnt(0)
	s_and_b32 s19, s0, 0xffff
	s_mul_i32 s6, s6, s19
	s_cmp_eq_u64 s[12:13], 0
	v_add_u32_e32 v4, s6, v0
	s_cbranch_scc1 .LBB12_10
; %bb.1:
	s_cmp_lt_u32 s11, s10
	s_cselect_b32 s0, s11, 0
	s_mov_b32 s3, 0
	v_cmp_eq_u32_e32 vcc, s0, v4
	s_and_saveexec_b64 s[0:1], vcc
	s_cbranch_execz .LBB12_9
; %bb.2:
	s_add_i32 s2, s11, 64
	s_lshl_b64 s[2:3], s[2:3], 4
	s_add_u32 s16, s8, s2
	s_addc_u32 s17, s9, s3
	v_mov_b32_e32 v0, s16
	v_mov_b32_e32 v1, s17
	;;#ASMSTART
	global_load_dwordx4 v[0:3], v[0:1] off glc	
s_waitcnt vmcnt(0)
	;;#ASMEND
	v_and_b32_e32 v5, 0xff, v2
	v_mov_b32_e32 v6, 0
	v_cmp_eq_u64_e32 vcc, 0, v[5:6]
	s_mov_b64 s[6:7], 0
	s_and_saveexec_b64 s[2:3], vcc
	s_cbranch_execz .LBB12_8
; %bb.3:
	v_mov_b32_e32 v7, s16
	s_mov_b32 s11, 1
	v_mov_b32_e32 v8, s17
.LBB12_4:                               ; =>This Loop Header: Depth=1
                                        ;     Child Loop BB12_5 Depth 2
	s_mov_b32 s16, s11
.LBB12_5:                               ;   Parent Loop BB12_4 Depth=1
                                        ; =>  This Inner Loop Header: Depth=2
	s_add_i32 s16, s16, -1
	s_cmp_eq_u32 s16, 0
	s_sleep 1
	s_cbranch_scc0 .LBB12_5
; %bb.6:                                ;   in Loop: Header=BB12_4 Depth=1
	s_cmp_lt_u32 s11, 32
	s_cselect_b64 s[16:17], -1, 0
	;;#ASMSTART
	global_load_dwordx4 v[0:3], v[7:8] off glc	
s_waitcnt vmcnt(0)
	;;#ASMEND
	v_and_b32_e32 v5, 0xff, v2
	s_cmp_lg_u64 s[16:17], 0
	v_cmp_ne_u64_e32 vcc, 0, v[5:6]
	s_addc_u32 s11, s11, 0
	s_or_b64 s[6:7], vcc, s[6:7]
	s_andn2_b64 exec, exec, s[6:7]
	s_cbranch_execnz .LBB12_4
; %bb.7:
	s_or_b64 exec, exec, s[6:7]
.LBB12_8:
	s_or_b64 exec, exec, s[2:3]
	v_mov_b32_e32 v2, 0
	global_store_dword v2, v0, s[12:13]
	global_store_byte v2, v1, s[12:13] offset:4
.LBB12_9:
	s_or_b64 exec, exec, s[0:1]
.LBB12_10:
	v_cmp_eq_u32_e32 vcc, 0, v4
	s_and_saveexec_b64 s[0:1], vcc
	s_cbranch_execz .LBB12_12
; %bb.11:
	s_load_dwordx2 s[2:3], s[4:5], 0x40
	v_mov_b32_e32 v0, 0
	s_waitcnt lgkmcnt(0)
	global_store_dword v0, v0, s[2:3]
.LBB12_12:
	s_or_b64 exec, exec, s[0:1]
	v_cmp_gt_u32_e32 vcc, s10, v4
	s_and_saveexec_b64 s[0:1], vcc
	s_cbranch_execz .LBB12_14
; %bb.13:
	v_add_u32_e32 v0, 64, v4
	v_mov_b32_e32 v1, 0
	v_lshlrev_b64 v[2:3], 4, v[0:1]
	v_mov_b32_e32 v0, s9
	v_add_co_u32_e32 v5, vcc, s8, v2
	v_addc_co_u32_e32 v6, vcc, v0, v3, vcc
	v_mov_b32_e32 v0, v1
	v_mov_b32_e32 v2, v1
	;; [unrolled: 1-line block ×3, first 2 shown]
	global_store_dwordx4 v[5:6], v[0:3], off
.LBB12_14:
	s_or_b64 exec, exec, s[0:1]
	v_cmp_gt_u32_e32 vcc, 64, v4
	v_mov_b32_e32 v5, 0
	s_and_saveexec_b64 s[0:1], vcc
	s_cbranch_execz .LBB12_16
; %bb.15:
	v_lshlrev_b64 v[0:1], 4, v[4:5]
	v_mov_b32_e32 v2, s9
	v_add_co_u32_e32 v6, vcc, s8, v0
	v_addc_co_u32_e32 v7, vcc, v2, v1, vcc
	v_mov_b32_e32 v2, 0xff
	v_mov_b32_e32 v0, v5
	v_mov_b32_e32 v1, v5
	v_mov_b32_e32 v3, v5
	global_store_dwordx4 v[6:7], v[0:3], off
.LBB12_16:
	s_or_b64 exec, exec, s[0:1]
	s_load_dwordx2 s[2:3], s[4:5], 0x30
	s_waitcnt lgkmcnt(0)
	v_cmp_gt_u64_e32 vcc, s[2:3], v[4:5]
	s_and_saveexec_b64 s[0:1], vcc
	s_cbranch_execz .LBB12_23
; %bb.17:
	s_load_dword s6, s[4:5], 0x38
	s_load_dwordx4 s[8:11], s[4:5], 0x20
	v_lshlrev_b64 v[2:3], 3, v[4:5]
	s_mul_i32 s4, s18, s19
	s_mov_b32 s5, 0
	s_waitcnt lgkmcnt(0)
	s_add_i32 s0, s6, -1
	v_cvt_f32_u32_e32 v6, s8
	v_cvt_f32_u32_e32 v7, s9
	s_add_u32 s0, s0, s14
	s_addc_u32 s1, 0, s15
	v_mov_b32_e32 v0, s0
	v_madmk_f32 v6, v7, 0x4f800000, v6
	v_rcp_f32_e32 v6, v6
	v_mov_b32_e32 v1, s1
	v_mad_u64_u32 v[0:1], s[0:1], s6, v4, v[0:1]
	v_mul_f32_e32 v6, 0x5f7ffffc, v6
	v_mul_f32_e32 v7, 0x2f800000, v6
	v_trunc_f32_e32 v7, v7
	v_madmk_f32 v6, v7, 0xcf800000, v6
	v_cvt_u32_f32_e32 v9, v6
	v_cvt_u32_f32_e32 v10, v7
	v_mov_b32_e32 v8, s11
	v_add_co_u32_e32 v2, vcc, s10, v2
	s_mul_hi_u32 s14, s6, s4
	s_mul_i32 s15, s6, s4
	v_addc_co_u32_e32 v3, vcc, v8, v3, vcc
	s_lshl_b64 s[6:7], s[4:5], 3
	s_mov_b64 s[10:11], 0
	v_mov_b32_e32 v6, 0
	s_branch .LBB12_19
.LBB12_18:                              ;   in Loop: Header=BB12_19 Depth=1
	s_or_b64 exec, exec, s[0:1]
	v_add_co_u32_e32 v4, vcc, s4, v4
	v_addc_co_u32_e32 v5, vcc, 0, v5, vcc
	global_store_dwordx2 v[2:3], v[7:8], off
	v_mov_b32_e32 v7, s14
	v_add_co_u32_e32 v0, vcc, s15, v0
	v_addc_co_u32_e32 v1, vcc, v1, v7, vcc
	v_cmp_le_u64_e32 vcc, s[2:3], v[4:5]
	v_mov_b32_e32 v7, s7
	s_or_b64 s[10:11], vcc, s[10:11]
	v_add_co_u32_e32 v2, vcc, s6, v2
	v_addc_co_u32_e32 v3, vcc, v3, v7, vcc
	s_andn2_b64 exec, exec, s[10:11]
	s_cbranch_execz .LBB12_23
.LBB12_19:                              ; =>This Inner Loop Header: Depth=1
	v_or_b32_e32 v7, s9, v1
	v_cmp_ne_u64_e32 vcc, 0, v[6:7]
                                        ; implicit-def: $vgpr7_vgpr8
	s_and_saveexec_b64 s[0:1], vcc
	s_xor_b64 s[12:13], exec, s[0:1]
	s_cbranch_execz .LBB12_21
; %bb.20:                               ;   in Loop: Header=BB12_19 Depth=1
	s_sub_u32 s5, 0, s8
	v_readfirstlane_b32 s0, v9
	v_readfirstlane_b32 s18, v10
	s_subb_u32 s16, 0, s9
	s_mul_hi_u32 s17, s5, s0
	s_mul_i32 s19, s5, s18
	s_mul_i32 s1, s16, s0
	s_add_i32 s17, s17, s19
	s_add_i32 s17, s17, s1
	s_mul_i32 s20, s5, s0
	s_mul_i32 s19, s0, s17
	s_mul_hi_u32 s21, s0, s20
	s_mul_hi_u32 s1, s0, s17
	s_add_u32 s19, s21, s19
	s_addc_u32 s1, 0, s1
	s_mul_hi_u32 s22, s18, s20
	s_mul_i32 s20, s18, s20
	s_add_u32 s19, s19, s20
	s_mul_hi_u32 s21, s18, s17
	s_addc_u32 s1, s1, s22
	s_addc_u32 s19, s21, 0
	s_mul_i32 s17, s18, s17
	s_add_u32 s1, s1, s17
	s_addc_u32 s17, 0, s19
	s_add_u32 s19, s0, s1
	s_cselect_b64 s[0:1], -1, 0
	s_cmp_lg_u64 s[0:1], 0
	s_addc_u32 s17, s18, s17
	s_mul_i32 s0, s5, s17
	s_mul_hi_u32 s1, s5, s19
	s_add_i32 s0, s1, s0
	s_mul_i32 s16, s16, s19
	s_add_i32 s0, s0, s16
	s_mul_i32 s5, s5, s19
	s_mul_hi_u32 s16, s17, s5
	s_mul_i32 s18, s17, s5
	s_mul_i32 s21, s19, s0
	s_mul_hi_u32 s5, s19, s5
	s_mul_hi_u32 s20, s19, s0
	s_add_u32 s5, s5, s21
	s_addc_u32 s20, 0, s20
	s_add_u32 s5, s5, s18
	s_mul_hi_u32 s1, s17, s0
	s_addc_u32 s5, s20, s16
	s_addc_u32 s1, s1, 0
	s_mul_i32 s0, s17, s0
	s_add_u32 s0, s5, s0
	s_addc_u32 s5, 0, s1
	s_add_u32 s16, s19, s0
	s_cselect_b64 s[0:1], -1, 0
	s_cmp_lg_u64 s[0:1], 0
	s_addc_u32 s5, s17, s5
	v_mad_u64_u32 v[7:8], s[0:1], v0, s5, 0
	v_mul_hi_u32 v11, v0, s16
	v_add_co_u32_e32 v13, vcc, v11, v7
	v_addc_co_u32_e32 v14, vcc, 0, v8, vcc
	v_mad_u64_u32 v[7:8], s[0:1], v1, s16, 0
	v_mad_u64_u32 v[11:12], s[0:1], v1, s5, 0
	v_add_co_u32_e32 v7, vcc, v13, v7
	v_addc_co_u32_e32 v7, vcc, v14, v8, vcc
	v_addc_co_u32_e32 v8, vcc, 0, v12, vcc
	v_add_co_u32_e32 v11, vcc, v7, v11
	v_addc_co_u32_e32 v12, vcc, 0, v8, vcc
	v_mul_lo_u32 v13, s9, v11
	v_mul_lo_u32 v14, s8, v12
	v_mad_u64_u32 v[7:8], s[0:1], s8, v11, 0
	v_add3_u32 v8, v8, v14, v13
	v_sub_u32_e32 v13, v1, v8
	v_mov_b32_e32 v14, s9
	v_sub_co_u32_e32 v7, vcc, v0, v7
	v_subb_co_u32_e64 v13, s[0:1], v13, v14, vcc
	v_subrev_co_u32_e64 v14, s[0:1], s8, v7
	v_subbrev_co_u32_e64 v13, s[0:1], 0, v13, s[0:1]
	v_cmp_le_u32_e64 s[0:1], s9, v13
	v_cndmask_b32_e64 v15, 0, -1, s[0:1]
	v_cmp_le_u32_e64 s[0:1], s8, v14
	v_cndmask_b32_e64 v14, 0, -1, s[0:1]
	v_cmp_eq_u32_e64 s[0:1], s9, v13
	v_cndmask_b32_e64 v13, v15, v14, s[0:1]
	v_add_co_u32_e64 v14, s[0:1], 2, v11
	v_addc_co_u32_e64 v15, s[0:1], 0, v12, s[0:1]
	v_add_co_u32_e64 v16, s[0:1], 1, v11
	v_addc_co_u32_e64 v17, s[0:1], 0, v12, s[0:1]
	v_subb_co_u32_e32 v8, vcc, v1, v8, vcc
	v_cmp_ne_u32_e64 s[0:1], 0, v13
	v_cmp_le_u32_e32 vcc, s9, v8
	v_cndmask_b32_e64 v13, v17, v15, s[0:1]
	v_cndmask_b32_e64 v15, 0, -1, vcc
	v_cmp_le_u32_e32 vcc, s8, v7
	v_cndmask_b32_e64 v7, 0, -1, vcc
	v_cmp_eq_u32_e32 vcc, s9, v8
	v_cndmask_b32_e32 v7, v15, v7, vcc
	v_cmp_ne_u32_e32 vcc, 0, v7
	v_cndmask_b32_e64 v7, v16, v14, s[0:1]
	v_cndmask_b32_e32 v8, v12, v13, vcc
	v_cndmask_b32_e32 v7, v11, v7, vcc
.LBB12_21:                              ;   in Loop: Header=BB12_19 Depth=1
	s_andn2_saveexec_b64 s[0:1], s[12:13]
	s_cbranch_execz .LBB12_18
; %bb.22:                               ;   in Loop: Header=BB12_19 Depth=1
	v_cvt_f32_u32_e32 v7, s8
	s_sub_i32 s5, 0, s8
	v_rcp_iflag_f32_e32 v7, v7
	v_mul_f32_e32 v7, 0x4f7ffffe, v7
	v_cvt_u32_f32_e32 v7, v7
	v_mul_lo_u32 v8, s5, v7
	v_mul_hi_u32 v8, v7, v8
	v_add_u32_e32 v7, v7, v8
	v_mul_hi_u32 v7, v0, v7
	v_mul_lo_u32 v8, v7, s8
	v_add_u32_e32 v11, 1, v7
	v_sub_u32_e32 v8, v0, v8
	v_subrev_u32_e32 v12, s8, v8
	v_cmp_le_u32_e32 vcc, s8, v8
	v_cndmask_b32_e32 v8, v8, v12, vcc
	v_cndmask_b32_e32 v7, v7, v11, vcc
	v_add_u32_e32 v11, 1, v7
	v_cmp_le_u32_e32 vcc, s8, v8
	v_cndmask_b32_e32 v7, v7, v11, vcc
	v_mov_b32_e32 v8, v6
	s_branch .LBB12_18
.LBB12_23:
	s_endpgm
	.section	.rodata,"a",@progbits
	.p2align	6, 0x0
	.amdhsa_kernel _ZN7rocprim17ROCPRIM_400000_NS6detail30init_device_scan_by_key_kernelINS1_19lookback_scan_stateINS0_5tupleIJibEEELb1ELb1EEEN6thrust23THRUST_200600_302600_NS18transform_iteratorI9row_indexNS8_17counting_iteratorImNS8_11use_defaultESC_SC_EESC_SC_EEjNS1_16block_id_wrapperIjLb1EEEEEvT_jjPNSH_10value_typeET0_PNSt15iterator_traitsISK_E10value_typeEmT1_T2_
		.amdhsa_group_segment_fixed_size 0
		.amdhsa_private_segment_fixed_size 0
		.amdhsa_kernarg_size 328
		.amdhsa_user_sgpr_count 6
		.amdhsa_user_sgpr_private_segment_buffer 1
		.amdhsa_user_sgpr_dispatch_ptr 0
		.amdhsa_user_sgpr_queue_ptr 0
		.amdhsa_user_sgpr_kernarg_segment_ptr 1
		.amdhsa_user_sgpr_dispatch_id 0
		.amdhsa_user_sgpr_flat_scratch_init 0
		.amdhsa_user_sgpr_private_segment_size 0
		.amdhsa_uses_dynamic_stack 0
		.amdhsa_system_sgpr_private_segment_wavefront_offset 0
		.amdhsa_system_sgpr_workgroup_id_x 1
		.amdhsa_system_sgpr_workgroup_id_y 0
		.amdhsa_system_sgpr_workgroup_id_z 0
		.amdhsa_system_sgpr_workgroup_info 0
		.amdhsa_system_vgpr_workitem_id 0
		.amdhsa_next_free_vgpr 18
		.amdhsa_next_free_sgpr 23
		.amdhsa_reserve_vcc 1
		.amdhsa_reserve_flat_scratch 0
		.amdhsa_float_round_mode_32 0
		.amdhsa_float_round_mode_16_64 0
		.amdhsa_float_denorm_mode_32 3
		.amdhsa_float_denorm_mode_16_64 3
		.amdhsa_dx10_clamp 1
		.amdhsa_ieee_mode 1
		.amdhsa_fp16_overflow 0
		.amdhsa_exception_fp_ieee_invalid_op 0
		.amdhsa_exception_fp_denorm_src 0
		.amdhsa_exception_fp_ieee_div_zero 0
		.amdhsa_exception_fp_ieee_overflow 0
		.amdhsa_exception_fp_ieee_underflow 0
		.amdhsa_exception_fp_ieee_inexact 0
		.amdhsa_exception_int_div_zero 0
	.end_amdhsa_kernel
	.section	.text._ZN7rocprim17ROCPRIM_400000_NS6detail30init_device_scan_by_key_kernelINS1_19lookback_scan_stateINS0_5tupleIJibEEELb1ELb1EEEN6thrust23THRUST_200600_302600_NS18transform_iteratorI9row_indexNS8_17counting_iteratorImNS8_11use_defaultESC_SC_EESC_SC_EEjNS1_16block_id_wrapperIjLb1EEEEEvT_jjPNSH_10value_typeET0_PNSt15iterator_traitsISK_E10value_typeEmT1_T2_,"axG",@progbits,_ZN7rocprim17ROCPRIM_400000_NS6detail30init_device_scan_by_key_kernelINS1_19lookback_scan_stateINS0_5tupleIJibEEELb1ELb1EEEN6thrust23THRUST_200600_302600_NS18transform_iteratorI9row_indexNS8_17counting_iteratorImNS8_11use_defaultESC_SC_EESC_SC_EEjNS1_16block_id_wrapperIjLb1EEEEEvT_jjPNSH_10value_typeET0_PNSt15iterator_traitsISK_E10value_typeEmT1_T2_,comdat
.Lfunc_end12:
	.size	_ZN7rocprim17ROCPRIM_400000_NS6detail30init_device_scan_by_key_kernelINS1_19lookback_scan_stateINS0_5tupleIJibEEELb1ELb1EEEN6thrust23THRUST_200600_302600_NS18transform_iteratorI9row_indexNS8_17counting_iteratorImNS8_11use_defaultESC_SC_EESC_SC_EEjNS1_16block_id_wrapperIjLb1EEEEEvT_jjPNSH_10value_typeET0_PNSt15iterator_traitsISK_E10value_typeEmT1_T2_, .Lfunc_end12-_ZN7rocprim17ROCPRIM_400000_NS6detail30init_device_scan_by_key_kernelINS1_19lookback_scan_stateINS0_5tupleIJibEEELb1ELb1EEEN6thrust23THRUST_200600_302600_NS18transform_iteratorI9row_indexNS8_17counting_iteratorImNS8_11use_defaultESC_SC_EESC_SC_EEjNS1_16block_id_wrapperIjLb1EEEEEvT_jjPNSH_10value_typeET0_PNSt15iterator_traitsISK_E10value_typeEmT1_T2_
                                        ; -- End function
	.set _ZN7rocprim17ROCPRIM_400000_NS6detail30init_device_scan_by_key_kernelINS1_19lookback_scan_stateINS0_5tupleIJibEEELb1ELb1EEEN6thrust23THRUST_200600_302600_NS18transform_iteratorI9row_indexNS8_17counting_iteratorImNS8_11use_defaultESC_SC_EESC_SC_EEjNS1_16block_id_wrapperIjLb1EEEEEvT_jjPNSH_10value_typeET0_PNSt15iterator_traitsISK_E10value_typeEmT1_T2_.num_vgpr, 18
	.set _ZN7rocprim17ROCPRIM_400000_NS6detail30init_device_scan_by_key_kernelINS1_19lookback_scan_stateINS0_5tupleIJibEEELb1ELb1EEEN6thrust23THRUST_200600_302600_NS18transform_iteratorI9row_indexNS8_17counting_iteratorImNS8_11use_defaultESC_SC_EESC_SC_EEjNS1_16block_id_wrapperIjLb1EEEEEvT_jjPNSH_10value_typeET0_PNSt15iterator_traitsISK_E10value_typeEmT1_T2_.num_agpr, 0
	.set _ZN7rocprim17ROCPRIM_400000_NS6detail30init_device_scan_by_key_kernelINS1_19lookback_scan_stateINS0_5tupleIJibEEELb1ELb1EEEN6thrust23THRUST_200600_302600_NS18transform_iteratorI9row_indexNS8_17counting_iteratorImNS8_11use_defaultESC_SC_EESC_SC_EEjNS1_16block_id_wrapperIjLb1EEEEEvT_jjPNSH_10value_typeET0_PNSt15iterator_traitsISK_E10value_typeEmT1_T2_.numbered_sgpr, 23
	.set _ZN7rocprim17ROCPRIM_400000_NS6detail30init_device_scan_by_key_kernelINS1_19lookback_scan_stateINS0_5tupleIJibEEELb1ELb1EEEN6thrust23THRUST_200600_302600_NS18transform_iteratorI9row_indexNS8_17counting_iteratorImNS8_11use_defaultESC_SC_EESC_SC_EEjNS1_16block_id_wrapperIjLb1EEEEEvT_jjPNSH_10value_typeET0_PNSt15iterator_traitsISK_E10value_typeEmT1_T2_.num_named_barrier, 0
	.set _ZN7rocprim17ROCPRIM_400000_NS6detail30init_device_scan_by_key_kernelINS1_19lookback_scan_stateINS0_5tupleIJibEEELb1ELb1EEEN6thrust23THRUST_200600_302600_NS18transform_iteratorI9row_indexNS8_17counting_iteratorImNS8_11use_defaultESC_SC_EESC_SC_EEjNS1_16block_id_wrapperIjLb1EEEEEvT_jjPNSH_10value_typeET0_PNSt15iterator_traitsISK_E10value_typeEmT1_T2_.private_seg_size, 0
	.set _ZN7rocprim17ROCPRIM_400000_NS6detail30init_device_scan_by_key_kernelINS1_19lookback_scan_stateINS0_5tupleIJibEEELb1ELb1EEEN6thrust23THRUST_200600_302600_NS18transform_iteratorI9row_indexNS8_17counting_iteratorImNS8_11use_defaultESC_SC_EESC_SC_EEjNS1_16block_id_wrapperIjLb1EEEEEvT_jjPNSH_10value_typeET0_PNSt15iterator_traitsISK_E10value_typeEmT1_T2_.uses_vcc, 1
	.set _ZN7rocprim17ROCPRIM_400000_NS6detail30init_device_scan_by_key_kernelINS1_19lookback_scan_stateINS0_5tupleIJibEEELb1ELb1EEEN6thrust23THRUST_200600_302600_NS18transform_iteratorI9row_indexNS8_17counting_iteratorImNS8_11use_defaultESC_SC_EESC_SC_EEjNS1_16block_id_wrapperIjLb1EEEEEvT_jjPNSH_10value_typeET0_PNSt15iterator_traitsISK_E10value_typeEmT1_T2_.uses_flat_scratch, 0
	.set _ZN7rocprim17ROCPRIM_400000_NS6detail30init_device_scan_by_key_kernelINS1_19lookback_scan_stateINS0_5tupleIJibEEELb1ELb1EEEN6thrust23THRUST_200600_302600_NS18transform_iteratorI9row_indexNS8_17counting_iteratorImNS8_11use_defaultESC_SC_EESC_SC_EEjNS1_16block_id_wrapperIjLb1EEEEEvT_jjPNSH_10value_typeET0_PNSt15iterator_traitsISK_E10value_typeEmT1_T2_.has_dyn_sized_stack, 0
	.set _ZN7rocprim17ROCPRIM_400000_NS6detail30init_device_scan_by_key_kernelINS1_19lookback_scan_stateINS0_5tupleIJibEEELb1ELb1EEEN6thrust23THRUST_200600_302600_NS18transform_iteratorI9row_indexNS8_17counting_iteratorImNS8_11use_defaultESC_SC_EESC_SC_EEjNS1_16block_id_wrapperIjLb1EEEEEvT_jjPNSH_10value_typeET0_PNSt15iterator_traitsISK_E10value_typeEmT1_T2_.has_recursion, 0
	.set _ZN7rocprim17ROCPRIM_400000_NS6detail30init_device_scan_by_key_kernelINS1_19lookback_scan_stateINS0_5tupleIJibEEELb1ELb1EEEN6thrust23THRUST_200600_302600_NS18transform_iteratorI9row_indexNS8_17counting_iteratorImNS8_11use_defaultESC_SC_EESC_SC_EEjNS1_16block_id_wrapperIjLb1EEEEEvT_jjPNSH_10value_typeET0_PNSt15iterator_traitsISK_E10value_typeEmT1_T2_.has_indirect_call, 0
	.section	.AMDGPU.csdata,"",@progbits
; Kernel info:
; codeLenInByte = 1308
; TotalNumSgprs: 27
; NumVgprs: 18
; ScratchSize: 0
; MemoryBound: 0
; FloatMode: 240
; IeeeMode: 1
; LDSByteSize: 0 bytes/workgroup (compile time only)
; SGPRBlocks: 3
; VGPRBlocks: 4
; NumSGPRsForWavesPerEU: 27
; NumVGPRsForWavesPerEU: 18
; Occupancy: 10
; WaveLimiterHint : 0
; COMPUTE_PGM_RSRC2:SCRATCH_EN: 0
; COMPUTE_PGM_RSRC2:USER_SGPR: 6
; COMPUTE_PGM_RSRC2:TRAP_HANDLER: 0
; COMPUTE_PGM_RSRC2:TGID_X_EN: 1
; COMPUTE_PGM_RSRC2:TGID_Y_EN: 0
; COMPUTE_PGM_RSRC2:TGID_Z_EN: 0
; COMPUTE_PGM_RSRC2:TIDIG_COMP_CNT: 0
	.section	.text._ZN7rocprim17ROCPRIM_400000_NS6detail30init_device_scan_by_key_kernelINS1_19lookback_scan_stateINS0_5tupleIJibEEELb1ELb1EEENS1_16block_id_wrapperIjLb1EEEEEvT_jjPNS9_10value_typeET0_,"axG",@progbits,_ZN7rocprim17ROCPRIM_400000_NS6detail30init_device_scan_by_key_kernelINS1_19lookback_scan_stateINS0_5tupleIJibEEELb1ELb1EEENS1_16block_id_wrapperIjLb1EEEEEvT_jjPNS9_10value_typeET0_,comdat
	.protected	_ZN7rocprim17ROCPRIM_400000_NS6detail30init_device_scan_by_key_kernelINS1_19lookback_scan_stateINS0_5tupleIJibEEELb1ELb1EEENS1_16block_id_wrapperIjLb1EEEEEvT_jjPNS9_10value_typeET0_ ; -- Begin function _ZN7rocprim17ROCPRIM_400000_NS6detail30init_device_scan_by_key_kernelINS1_19lookback_scan_stateINS0_5tupleIJibEEELb1ELb1EEENS1_16block_id_wrapperIjLb1EEEEEvT_jjPNS9_10value_typeET0_
	.globl	_ZN7rocprim17ROCPRIM_400000_NS6detail30init_device_scan_by_key_kernelINS1_19lookback_scan_stateINS0_5tupleIJibEEELb1ELb1EEENS1_16block_id_wrapperIjLb1EEEEEvT_jjPNS9_10value_typeET0_
	.p2align	8
	.type	_ZN7rocprim17ROCPRIM_400000_NS6detail30init_device_scan_by_key_kernelINS1_19lookback_scan_stateINS0_5tupleIJibEEELb1ELb1EEENS1_16block_id_wrapperIjLb1EEEEEvT_jjPNS9_10value_typeET0_,@function
_ZN7rocprim17ROCPRIM_400000_NS6detail30init_device_scan_by_key_kernelINS1_19lookback_scan_stateINS0_5tupleIJibEEELb1ELb1EEENS1_16block_id_wrapperIjLb1EEEEEvT_jjPNS9_10value_typeET0_: ; @_ZN7rocprim17ROCPRIM_400000_NS6detail30init_device_scan_by_key_kernelINS1_19lookback_scan_stateINS0_5tupleIJibEEELb1ELb1EEENS1_16block_id_wrapperIjLb1EEEEEvT_jjPNS9_10value_typeET0_
; %bb.0:
	s_load_dword s0, s[4:5], 0x2c
	s_load_dwordx8 s[8:15], s[4:5], 0x0
	s_waitcnt lgkmcnt(0)
	s_and_b32 s0, s0, 0xffff
	s_mul_i32 s6, s6, s0
	s_cmp_eq_u64 s[12:13], 0
	v_add_u32_e32 v0, s6, v0
	s_cbranch_scc1 .LBB13_10
; %bb.1:
	s_cmp_lt_u32 s11, s10
	s_cselect_b32 s0, s11, 0
	s_mov_b32 s3, 0
	v_cmp_eq_u32_e32 vcc, s0, v0
	s_and_saveexec_b64 s[0:1], vcc
	s_cbranch_execz .LBB13_9
; %bb.2:
	s_add_i32 s2, s11, 64
	s_lshl_b64 s[2:3], s[2:3], 4
	s_add_u32 s6, s8, s2
	s_addc_u32 s7, s9, s3
	v_mov_b32_e32 v1, s6
	v_mov_b32_e32 v2, s7
	;;#ASMSTART
	global_load_dwordx4 v[1:4], v[1:2] off glc	
s_waitcnt vmcnt(0)
	;;#ASMEND
	v_and_b32_e32 v4, 0xff, v3
	v_mov_b32_e32 v5, 0
	v_cmp_eq_u64_e32 vcc, 0, v[4:5]
	s_mov_b64 s[4:5], 0
	s_and_saveexec_b64 s[2:3], vcc
	s_cbranch_execz .LBB13_8
; %bb.3:
	v_mov_b32_e32 v6, s6
	s_mov_b32 s11, 1
	v_mov_b32_e32 v7, s7
.LBB13_4:                               ; =>This Loop Header: Depth=1
                                        ;     Child Loop BB13_5 Depth 2
	s_mov_b32 s6, s11
.LBB13_5:                               ;   Parent Loop BB13_4 Depth=1
                                        ; =>  This Inner Loop Header: Depth=2
	s_add_i32 s6, s6, -1
	s_cmp_eq_u32 s6, 0
	s_sleep 1
	s_cbranch_scc0 .LBB13_5
; %bb.6:                                ;   in Loop: Header=BB13_4 Depth=1
	s_cmp_lt_u32 s11, 32
	;;#ASMSTART
	global_load_dwordx4 v[1:4], v[6:7] off glc	
s_waitcnt vmcnt(0)
	;;#ASMEND
	s_cselect_b64 s[6:7], -1, 0
	v_and_b32_e32 v4, 0xff, v3
	s_cmp_lg_u64 s[6:7], 0
	v_cmp_ne_u64_e32 vcc, 0, v[4:5]
	s_addc_u32 s11, s11, 0
	s_or_b64 s[4:5], vcc, s[4:5]
	s_andn2_b64 exec, exec, s[4:5]
	s_cbranch_execnz .LBB13_4
; %bb.7:
	s_or_b64 exec, exec, s[4:5]
.LBB13_8:
	s_or_b64 exec, exec, s[2:3]
	v_mov_b32_e32 v3, 0
	global_store_dword v3, v1, s[12:13]
	global_store_byte v3, v2, s[12:13] offset:4
.LBB13_9:
	s_or_b64 exec, exec, s[0:1]
.LBB13_10:
	v_cmp_eq_u32_e32 vcc, 0, v0
	s_and_saveexec_b64 s[0:1], vcc
	s_cbranch_execnz .LBB13_14
; %bb.11:
	s_or_b64 exec, exec, s[0:1]
	v_cmp_gt_u32_e32 vcc, s10, v0
	s_and_saveexec_b64 s[0:1], vcc
	s_cbranch_execnz .LBB13_15
.LBB13_12:
	s_or_b64 exec, exec, s[0:1]
	v_cmp_gt_u32_e32 vcc, 64, v0
	s_and_saveexec_b64 s[0:1], vcc
	s_cbranch_execnz .LBB13_16
.LBB13_13:
	s_endpgm
.LBB13_14:
	v_mov_b32_e32 v1, 0
	global_store_dword v1, v1, s[14:15]
	s_or_b64 exec, exec, s[0:1]
	v_cmp_gt_u32_e32 vcc, s10, v0
	s_and_saveexec_b64 s[0:1], vcc
	s_cbranch_execz .LBB13_12
.LBB13_15:
	v_add_u32_e32 v1, 64, v0
	v_mov_b32_e32 v2, 0
	v_lshlrev_b64 v[3:4], 4, v[1:2]
	v_mov_b32_e32 v1, s9
	v_add_co_u32_e32 v5, vcc, s8, v3
	v_addc_co_u32_e32 v6, vcc, v1, v4, vcc
	v_mov_b32_e32 v1, v2
	v_mov_b32_e32 v3, v2
	;; [unrolled: 1-line block ×3, first 2 shown]
	global_store_dwordx4 v[5:6], v[1:4], off
	s_or_b64 exec, exec, s[0:1]
	v_cmp_gt_u32_e32 vcc, 64, v0
	s_and_saveexec_b64 s[0:1], vcc
	s_cbranch_execz .LBB13_13
.LBB13_16:
	v_mov_b32_e32 v1, 0
	v_lshlrev_b64 v[2:3], 4, v[0:1]
	v_mov_b32_e32 v0, s9
	v_add_co_u32_e32 v4, vcc, s8, v2
	v_addc_co_u32_e32 v5, vcc, v0, v3, vcc
	v_mov_b32_e32 v2, 0xff
	v_mov_b32_e32 v0, v1
	;; [unrolled: 1-line block ×3, first 2 shown]
	global_store_dwordx4 v[4:5], v[0:3], off
	s_endpgm
	.section	.rodata,"a",@progbits
	.p2align	6, 0x0
	.amdhsa_kernel _ZN7rocprim17ROCPRIM_400000_NS6detail30init_device_scan_by_key_kernelINS1_19lookback_scan_stateINS0_5tupleIJibEEELb1ELb1EEENS1_16block_id_wrapperIjLb1EEEEEvT_jjPNS9_10value_typeET0_
		.amdhsa_group_segment_fixed_size 0
		.amdhsa_private_segment_fixed_size 0
		.amdhsa_kernarg_size 288
		.amdhsa_user_sgpr_count 6
		.amdhsa_user_sgpr_private_segment_buffer 1
		.amdhsa_user_sgpr_dispatch_ptr 0
		.amdhsa_user_sgpr_queue_ptr 0
		.amdhsa_user_sgpr_kernarg_segment_ptr 1
		.amdhsa_user_sgpr_dispatch_id 0
		.amdhsa_user_sgpr_flat_scratch_init 0
		.amdhsa_user_sgpr_private_segment_size 0
		.amdhsa_uses_dynamic_stack 0
		.amdhsa_system_sgpr_private_segment_wavefront_offset 0
		.amdhsa_system_sgpr_workgroup_id_x 1
		.amdhsa_system_sgpr_workgroup_id_y 0
		.amdhsa_system_sgpr_workgroup_id_z 0
		.amdhsa_system_sgpr_workgroup_info 0
		.amdhsa_system_vgpr_workitem_id 0
		.amdhsa_next_free_vgpr 8
		.amdhsa_next_free_sgpr 16
		.amdhsa_reserve_vcc 1
		.amdhsa_reserve_flat_scratch 0
		.amdhsa_float_round_mode_32 0
		.amdhsa_float_round_mode_16_64 0
		.amdhsa_float_denorm_mode_32 3
		.amdhsa_float_denorm_mode_16_64 3
		.amdhsa_dx10_clamp 1
		.amdhsa_ieee_mode 1
		.amdhsa_fp16_overflow 0
		.amdhsa_exception_fp_ieee_invalid_op 0
		.amdhsa_exception_fp_denorm_src 0
		.amdhsa_exception_fp_ieee_div_zero 0
		.amdhsa_exception_fp_ieee_overflow 0
		.amdhsa_exception_fp_ieee_underflow 0
		.amdhsa_exception_fp_ieee_inexact 0
		.amdhsa_exception_int_div_zero 0
	.end_amdhsa_kernel
	.section	.text._ZN7rocprim17ROCPRIM_400000_NS6detail30init_device_scan_by_key_kernelINS1_19lookback_scan_stateINS0_5tupleIJibEEELb1ELb1EEENS1_16block_id_wrapperIjLb1EEEEEvT_jjPNS9_10value_typeET0_,"axG",@progbits,_ZN7rocprim17ROCPRIM_400000_NS6detail30init_device_scan_by_key_kernelINS1_19lookback_scan_stateINS0_5tupleIJibEEELb1ELb1EEENS1_16block_id_wrapperIjLb1EEEEEvT_jjPNS9_10value_typeET0_,comdat
.Lfunc_end13:
	.size	_ZN7rocprim17ROCPRIM_400000_NS6detail30init_device_scan_by_key_kernelINS1_19lookback_scan_stateINS0_5tupleIJibEEELb1ELb1EEENS1_16block_id_wrapperIjLb1EEEEEvT_jjPNS9_10value_typeET0_, .Lfunc_end13-_ZN7rocprim17ROCPRIM_400000_NS6detail30init_device_scan_by_key_kernelINS1_19lookback_scan_stateINS0_5tupleIJibEEELb1ELb1EEENS1_16block_id_wrapperIjLb1EEEEEvT_jjPNS9_10value_typeET0_
                                        ; -- End function
	.set _ZN7rocprim17ROCPRIM_400000_NS6detail30init_device_scan_by_key_kernelINS1_19lookback_scan_stateINS0_5tupleIJibEEELb1ELb1EEENS1_16block_id_wrapperIjLb1EEEEEvT_jjPNS9_10value_typeET0_.num_vgpr, 8
	.set _ZN7rocprim17ROCPRIM_400000_NS6detail30init_device_scan_by_key_kernelINS1_19lookback_scan_stateINS0_5tupleIJibEEELb1ELb1EEENS1_16block_id_wrapperIjLb1EEEEEvT_jjPNS9_10value_typeET0_.num_agpr, 0
	.set _ZN7rocprim17ROCPRIM_400000_NS6detail30init_device_scan_by_key_kernelINS1_19lookback_scan_stateINS0_5tupleIJibEEELb1ELb1EEENS1_16block_id_wrapperIjLb1EEEEEvT_jjPNS9_10value_typeET0_.numbered_sgpr, 16
	.set _ZN7rocprim17ROCPRIM_400000_NS6detail30init_device_scan_by_key_kernelINS1_19lookback_scan_stateINS0_5tupleIJibEEELb1ELb1EEENS1_16block_id_wrapperIjLb1EEEEEvT_jjPNS9_10value_typeET0_.num_named_barrier, 0
	.set _ZN7rocprim17ROCPRIM_400000_NS6detail30init_device_scan_by_key_kernelINS1_19lookback_scan_stateINS0_5tupleIJibEEELb1ELb1EEENS1_16block_id_wrapperIjLb1EEEEEvT_jjPNS9_10value_typeET0_.private_seg_size, 0
	.set _ZN7rocprim17ROCPRIM_400000_NS6detail30init_device_scan_by_key_kernelINS1_19lookback_scan_stateINS0_5tupleIJibEEELb1ELb1EEENS1_16block_id_wrapperIjLb1EEEEEvT_jjPNS9_10value_typeET0_.uses_vcc, 1
	.set _ZN7rocprim17ROCPRIM_400000_NS6detail30init_device_scan_by_key_kernelINS1_19lookback_scan_stateINS0_5tupleIJibEEELb1ELb1EEENS1_16block_id_wrapperIjLb1EEEEEvT_jjPNS9_10value_typeET0_.uses_flat_scratch, 0
	.set _ZN7rocprim17ROCPRIM_400000_NS6detail30init_device_scan_by_key_kernelINS1_19lookback_scan_stateINS0_5tupleIJibEEELb1ELb1EEENS1_16block_id_wrapperIjLb1EEEEEvT_jjPNS9_10value_typeET0_.has_dyn_sized_stack, 0
	.set _ZN7rocprim17ROCPRIM_400000_NS6detail30init_device_scan_by_key_kernelINS1_19lookback_scan_stateINS0_5tupleIJibEEELb1ELb1EEENS1_16block_id_wrapperIjLb1EEEEEvT_jjPNS9_10value_typeET0_.has_recursion, 0
	.set _ZN7rocprim17ROCPRIM_400000_NS6detail30init_device_scan_by_key_kernelINS1_19lookback_scan_stateINS0_5tupleIJibEEELb1ELb1EEENS1_16block_id_wrapperIjLb1EEEEEvT_jjPNS9_10value_typeET0_.has_indirect_call, 0
	.section	.AMDGPU.csdata,"",@progbits
; Kernel info:
; codeLenInByte = 448
; TotalNumSgprs: 20
; NumVgprs: 8
; ScratchSize: 0
; MemoryBound: 0
; FloatMode: 240
; IeeeMode: 1
; LDSByteSize: 0 bytes/workgroup (compile time only)
; SGPRBlocks: 2
; VGPRBlocks: 1
; NumSGPRsForWavesPerEU: 20
; NumVGPRsForWavesPerEU: 8
; Occupancy: 10
; WaveLimiterHint : 0
; COMPUTE_PGM_RSRC2:SCRATCH_EN: 0
; COMPUTE_PGM_RSRC2:USER_SGPR: 6
; COMPUTE_PGM_RSRC2:TRAP_HANDLER: 0
; COMPUTE_PGM_RSRC2:TGID_X_EN: 1
; COMPUTE_PGM_RSRC2:TGID_Y_EN: 0
; COMPUTE_PGM_RSRC2:TGID_Z_EN: 0
; COMPUTE_PGM_RSRC2:TIDIG_COMP_CNT: 0
	.section	.text._ZN7rocprim17ROCPRIM_400000_NS6detail17trampoline_kernelINS0_14default_configENS1_27scan_by_key_config_selectorImiEEZZNS1_16scan_by_key_implILNS1_25lookback_scan_determinismE0ELb0ES3_N6thrust23THRUST_200600_302600_NS18transform_iteratorI9row_indexNS9_17counting_iteratorImNS9_11use_defaultESD_SD_EESD_SD_EENS9_6detail15normal_iteratorINS9_10device_ptrIiEEEESK_iNS9_4plusIvEENS9_8equal_toIvEEiEE10hipError_tPvRmT2_T3_T4_T5_mT6_T7_P12ihipStream_tbENKUlT_T0_E_clISt17integral_constantIbLb1EES15_EEDaS10_S11_EUlS10_E_NS1_11comp_targetILNS1_3genE0ELNS1_11target_archE4294967295ELNS1_3gpuE0ELNS1_3repE0EEENS1_30default_config_static_selectorELNS0_4arch9wavefront6targetE1EEEvT1_,"axG",@progbits,_ZN7rocprim17ROCPRIM_400000_NS6detail17trampoline_kernelINS0_14default_configENS1_27scan_by_key_config_selectorImiEEZZNS1_16scan_by_key_implILNS1_25lookback_scan_determinismE0ELb0ES3_N6thrust23THRUST_200600_302600_NS18transform_iteratorI9row_indexNS9_17counting_iteratorImNS9_11use_defaultESD_SD_EESD_SD_EENS9_6detail15normal_iteratorINS9_10device_ptrIiEEEESK_iNS9_4plusIvEENS9_8equal_toIvEEiEE10hipError_tPvRmT2_T3_T4_T5_mT6_T7_P12ihipStream_tbENKUlT_T0_E_clISt17integral_constantIbLb1EES15_EEDaS10_S11_EUlS10_E_NS1_11comp_targetILNS1_3genE0ELNS1_11target_archE4294967295ELNS1_3gpuE0ELNS1_3repE0EEENS1_30default_config_static_selectorELNS0_4arch9wavefront6targetE1EEEvT1_,comdat
	.protected	_ZN7rocprim17ROCPRIM_400000_NS6detail17trampoline_kernelINS0_14default_configENS1_27scan_by_key_config_selectorImiEEZZNS1_16scan_by_key_implILNS1_25lookback_scan_determinismE0ELb0ES3_N6thrust23THRUST_200600_302600_NS18transform_iteratorI9row_indexNS9_17counting_iteratorImNS9_11use_defaultESD_SD_EESD_SD_EENS9_6detail15normal_iteratorINS9_10device_ptrIiEEEESK_iNS9_4plusIvEENS9_8equal_toIvEEiEE10hipError_tPvRmT2_T3_T4_T5_mT6_T7_P12ihipStream_tbENKUlT_T0_E_clISt17integral_constantIbLb1EES15_EEDaS10_S11_EUlS10_E_NS1_11comp_targetILNS1_3genE0ELNS1_11target_archE4294967295ELNS1_3gpuE0ELNS1_3repE0EEENS1_30default_config_static_selectorELNS0_4arch9wavefront6targetE1EEEvT1_ ; -- Begin function _ZN7rocprim17ROCPRIM_400000_NS6detail17trampoline_kernelINS0_14default_configENS1_27scan_by_key_config_selectorImiEEZZNS1_16scan_by_key_implILNS1_25lookback_scan_determinismE0ELb0ES3_N6thrust23THRUST_200600_302600_NS18transform_iteratorI9row_indexNS9_17counting_iteratorImNS9_11use_defaultESD_SD_EESD_SD_EENS9_6detail15normal_iteratorINS9_10device_ptrIiEEEESK_iNS9_4plusIvEENS9_8equal_toIvEEiEE10hipError_tPvRmT2_T3_T4_T5_mT6_T7_P12ihipStream_tbENKUlT_T0_E_clISt17integral_constantIbLb1EES15_EEDaS10_S11_EUlS10_E_NS1_11comp_targetILNS1_3genE0ELNS1_11target_archE4294967295ELNS1_3gpuE0ELNS1_3repE0EEENS1_30default_config_static_selectorELNS0_4arch9wavefront6targetE1EEEvT1_
	.globl	_ZN7rocprim17ROCPRIM_400000_NS6detail17trampoline_kernelINS0_14default_configENS1_27scan_by_key_config_selectorImiEEZZNS1_16scan_by_key_implILNS1_25lookback_scan_determinismE0ELb0ES3_N6thrust23THRUST_200600_302600_NS18transform_iteratorI9row_indexNS9_17counting_iteratorImNS9_11use_defaultESD_SD_EESD_SD_EENS9_6detail15normal_iteratorINS9_10device_ptrIiEEEESK_iNS9_4plusIvEENS9_8equal_toIvEEiEE10hipError_tPvRmT2_T3_T4_T5_mT6_T7_P12ihipStream_tbENKUlT_T0_E_clISt17integral_constantIbLb1EES15_EEDaS10_S11_EUlS10_E_NS1_11comp_targetILNS1_3genE0ELNS1_11target_archE4294967295ELNS1_3gpuE0ELNS1_3repE0EEENS1_30default_config_static_selectorELNS0_4arch9wavefront6targetE1EEEvT1_
	.p2align	8
	.type	_ZN7rocprim17ROCPRIM_400000_NS6detail17trampoline_kernelINS0_14default_configENS1_27scan_by_key_config_selectorImiEEZZNS1_16scan_by_key_implILNS1_25lookback_scan_determinismE0ELb0ES3_N6thrust23THRUST_200600_302600_NS18transform_iteratorI9row_indexNS9_17counting_iteratorImNS9_11use_defaultESD_SD_EESD_SD_EENS9_6detail15normal_iteratorINS9_10device_ptrIiEEEESK_iNS9_4plusIvEENS9_8equal_toIvEEiEE10hipError_tPvRmT2_T3_T4_T5_mT6_T7_P12ihipStream_tbENKUlT_T0_E_clISt17integral_constantIbLb1EES15_EEDaS10_S11_EUlS10_E_NS1_11comp_targetILNS1_3genE0ELNS1_11target_archE4294967295ELNS1_3gpuE0ELNS1_3repE0EEENS1_30default_config_static_selectorELNS0_4arch9wavefront6targetE1EEEvT1_,@function
_ZN7rocprim17ROCPRIM_400000_NS6detail17trampoline_kernelINS0_14default_configENS1_27scan_by_key_config_selectorImiEEZZNS1_16scan_by_key_implILNS1_25lookback_scan_determinismE0ELb0ES3_N6thrust23THRUST_200600_302600_NS18transform_iteratorI9row_indexNS9_17counting_iteratorImNS9_11use_defaultESD_SD_EESD_SD_EENS9_6detail15normal_iteratorINS9_10device_ptrIiEEEESK_iNS9_4plusIvEENS9_8equal_toIvEEiEE10hipError_tPvRmT2_T3_T4_T5_mT6_T7_P12ihipStream_tbENKUlT_T0_E_clISt17integral_constantIbLb1EES15_EEDaS10_S11_EUlS10_E_NS1_11comp_targetILNS1_3genE0ELNS1_11target_archE4294967295ELNS1_3gpuE0ELNS1_3repE0EEENS1_30default_config_static_selectorELNS0_4arch9wavefront6targetE1EEEvT1_: ; @_ZN7rocprim17ROCPRIM_400000_NS6detail17trampoline_kernelINS0_14default_configENS1_27scan_by_key_config_selectorImiEEZZNS1_16scan_by_key_implILNS1_25lookback_scan_determinismE0ELb0ES3_N6thrust23THRUST_200600_302600_NS18transform_iteratorI9row_indexNS9_17counting_iteratorImNS9_11use_defaultESD_SD_EESD_SD_EENS9_6detail15normal_iteratorINS9_10device_ptrIiEEEESK_iNS9_4plusIvEENS9_8equal_toIvEEiEE10hipError_tPvRmT2_T3_T4_T5_mT6_T7_P12ihipStream_tbENKUlT_T0_E_clISt17integral_constantIbLb1EES15_EEDaS10_S11_EUlS10_E_NS1_11comp_targetILNS1_3genE0ELNS1_11target_archE4294967295ELNS1_3gpuE0ELNS1_3repE0EEENS1_30default_config_static_selectorELNS0_4arch9wavefront6targetE1EEEvT1_
; %bb.0:
	.section	.rodata,"a",@progbits
	.p2align	6, 0x0
	.amdhsa_kernel _ZN7rocprim17ROCPRIM_400000_NS6detail17trampoline_kernelINS0_14default_configENS1_27scan_by_key_config_selectorImiEEZZNS1_16scan_by_key_implILNS1_25lookback_scan_determinismE0ELb0ES3_N6thrust23THRUST_200600_302600_NS18transform_iteratorI9row_indexNS9_17counting_iteratorImNS9_11use_defaultESD_SD_EESD_SD_EENS9_6detail15normal_iteratorINS9_10device_ptrIiEEEESK_iNS9_4plusIvEENS9_8equal_toIvEEiEE10hipError_tPvRmT2_T3_T4_T5_mT6_T7_P12ihipStream_tbENKUlT_T0_E_clISt17integral_constantIbLb1EES15_EEDaS10_S11_EUlS10_E_NS1_11comp_targetILNS1_3genE0ELNS1_11target_archE4294967295ELNS1_3gpuE0ELNS1_3repE0EEENS1_30default_config_static_selectorELNS0_4arch9wavefront6targetE1EEEvT1_
		.amdhsa_group_segment_fixed_size 0
		.amdhsa_private_segment_fixed_size 0
		.amdhsa_kernarg_size 120
		.amdhsa_user_sgpr_count 6
		.amdhsa_user_sgpr_private_segment_buffer 1
		.amdhsa_user_sgpr_dispatch_ptr 0
		.amdhsa_user_sgpr_queue_ptr 0
		.amdhsa_user_sgpr_kernarg_segment_ptr 1
		.amdhsa_user_sgpr_dispatch_id 0
		.amdhsa_user_sgpr_flat_scratch_init 0
		.amdhsa_user_sgpr_private_segment_size 0
		.amdhsa_uses_dynamic_stack 0
		.amdhsa_system_sgpr_private_segment_wavefront_offset 0
		.amdhsa_system_sgpr_workgroup_id_x 1
		.amdhsa_system_sgpr_workgroup_id_y 0
		.amdhsa_system_sgpr_workgroup_id_z 0
		.amdhsa_system_sgpr_workgroup_info 0
		.amdhsa_system_vgpr_workitem_id 0
		.amdhsa_next_free_vgpr 1
		.amdhsa_next_free_sgpr 0
		.amdhsa_reserve_vcc 0
		.amdhsa_reserve_flat_scratch 0
		.amdhsa_float_round_mode_32 0
		.amdhsa_float_round_mode_16_64 0
		.amdhsa_float_denorm_mode_32 3
		.amdhsa_float_denorm_mode_16_64 3
		.amdhsa_dx10_clamp 1
		.amdhsa_ieee_mode 1
		.amdhsa_fp16_overflow 0
		.amdhsa_exception_fp_ieee_invalid_op 0
		.amdhsa_exception_fp_denorm_src 0
		.amdhsa_exception_fp_ieee_div_zero 0
		.amdhsa_exception_fp_ieee_overflow 0
		.amdhsa_exception_fp_ieee_underflow 0
		.amdhsa_exception_fp_ieee_inexact 0
		.amdhsa_exception_int_div_zero 0
	.end_amdhsa_kernel
	.section	.text._ZN7rocprim17ROCPRIM_400000_NS6detail17trampoline_kernelINS0_14default_configENS1_27scan_by_key_config_selectorImiEEZZNS1_16scan_by_key_implILNS1_25lookback_scan_determinismE0ELb0ES3_N6thrust23THRUST_200600_302600_NS18transform_iteratorI9row_indexNS9_17counting_iteratorImNS9_11use_defaultESD_SD_EESD_SD_EENS9_6detail15normal_iteratorINS9_10device_ptrIiEEEESK_iNS9_4plusIvEENS9_8equal_toIvEEiEE10hipError_tPvRmT2_T3_T4_T5_mT6_T7_P12ihipStream_tbENKUlT_T0_E_clISt17integral_constantIbLb1EES15_EEDaS10_S11_EUlS10_E_NS1_11comp_targetILNS1_3genE0ELNS1_11target_archE4294967295ELNS1_3gpuE0ELNS1_3repE0EEENS1_30default_config_static_selectorELNS0_4arch9wavefront6targetE1EEEvT1_,"axG",@progbits,_ZN7rocprim17ROCPRIM_400000_NS6detail17trampoline_kernelINS0_14default_configENS1_27scan_by_key_config_selectorImiEEZZNS1_16scan_by_key_implILNS1_25lookback_scan_determinismE0ELb0ES3_N6thrust23THRUST_200600_302600_NS18transform_iteratorI9row_indexNS9_17counting_iteratorImNS9_11use_defaultESD_SD_EESD_SD_EENS9_6detail15normal_iteratorINS9_10device_ptrIiEEEESK_iNS9_4plusIvEENS9_8equal_toIvEEiEE10hipError_tPvRmT2_T3_T4_T5_mT6_T7_P12ihipStream_tbENKUlT_T0_E_clISt17integral_constantIbLb1EES15_EEDaS10_S11_EUlS10_E_NS1_11comp_targetILNS1_3genE0ELNS1_11target_archE4294967295ELNS1_3gpuE0ELNS1_3repE0EEENS1_30default_config_static_selectorELNS0_4arch9wavefront6targetE1EEEvT1_,comdat
.Lfunc_end14:
	.size	_ZN7rocprim17ROCPRIM_400000_NS6detail17trampoline_kernelINS0_14default_configENS1_27scan_by_key_config_selectorImiEEZZNS1_16scan_by_key_implILNS1_25lookback_scan_determinismE0ELb0ES3_N6thrust23THRUST_200600_302600_NS18transform_iteratorI9row_indexNS9_17counting_iteratorImNS9_11use_defaultESD_SD_EESD_SD_EENS9_6detail15normal_iteratorINS9_10device_ptrIiEEEESK_iNS9_4plusIvEENS9_8equal_toIvEEiEE10hipError_tPvRmT2_T3_T4_T5_mT6_T7_P12ihipStream_tbENKUlT_T0_E_clISt17integral_constantIbLb1EES15_EEDaS10_S11_EUlS10_E_NS1_11comp_targetILNS1_3genE0ELNS1_11target_archE4294967295ELNS1_3gpuE0ELNS1_3repE0EEENS1_30default_config_static_selectorELNS0_4arch9wavefront6targetE1EEEvT1_, .Lfunc_end14-_ZN7rocprim17ROCPRIM_400000_NS6detail17trampoline_kernelINS0_14default_configENS1_27scan_by_key_config_selectorImiEEZZNS1_16scan_by_key_implILNS1_25lookback_scan_determinismE0ELb0ES3_N6thrust23THRUST_200600_302600_NS18transform_iteratorI9row_indexNS9_17counting_iteratorImNS9_11use_defaultESD_SD_EESD_SD_EENS9_6detail15normal_iteratorINS9_10device_ptrIiEEEESK_iNS9_4plusIvEENS9_8equal_toIvEEiEE10hipError_tPvRmT2_T3_T4_T5_mT6_T7_P12ihipStream_tbENKUlT_T0_E_clISt17integral_constantIbLb1EES15_EEDaS10_S11_EUlS10_E_NS1_11comp_targetILNS1_3genE0ELNS1_11target_archE4294967295ELNS1_3gpuE0ELNS1_3repE0EEENS1_30default_config_static_selectorELNS0_4arch9wavefront6targetE1EEEvT1_
                                        ; -- End function
	.set _ZN7rocprim17ROCPRIM_400000_NS6detail17trampoline_kernelINS0_14default_configENS1_27scan_by_key_config_selectorImiEEZZNS1_16scan_by_key_implILNS1_25lookback_scan_determinismE0ELb0ES3_N6thrust23THRUST_200600_302600_NS18transform_iteratorI9row_indexNS9_17counting_iteratorImNS9_11use_defaultESD_SD_EESD_SD_EENS9_6detail15normal_iteratorINS9_10device_ptrIiEEEESK_iNS9_4plusIvEENS9_8equal_toIvEEiEE10hipError_tPvRmT2_T3_T4_T5_mT6_T7_P12ihipStream_tbENKUlT_T0_E_clISt17integral_constantIbLb1EES15_EEDaS10_S11_EUlS10_E_NS1_11comp_targetILNS1_3genE0ELNS1_11target_archE4294967295ELNS1_3gpuE0ELNS1_3repE0EEENS1_30default_config_static_selectorELNS0_4arch9wavefront6targetE1EEEvT1_.num_vgpr, 0
	.set _ZN7rocprim17ROCPRIM_400000_NS6detail17trampoline_kernelINS0_14default_configENS1_27scan_by_key_config_selectorImiEEZZNS1_16scan_by_key_implILNS1_25lookback_scan_determinismE0ELb0ES3_N6thrust23THRUST_200600_302600_NS18transform_iteratorI9row_indexNS9_17counting_iteratorImNS9_11use_defaultESD_SD_EESD_SD_EENS9_6detail15normal_iteratorINS9_10device_ptrIiEEEESK_iNS9_4plusIvEENS9_8equal_toIvEEiEE10hipError_tPvRmT2_T3_T4_T5_mT6_T7_P12ihipStream_tbENKUlT_T0_E_clISt17integral_constantIbLb1EES15_EEDaS10_S11_EUlS10_E_NS1_11comp_targetILNS1_3genE0ELNS1_11target_archE4294967295ELNS1_3gpuE0ELNS1_3repE0EEENS1_30default_config_static_selectorELNS0_4arch9wavefront6targetE1EEEvT1_.num_agpr, 0
	.set _ZN7rocprim17ROCPRIM_400000_NS6detail17trampoline_kernelINS0_14default_configENS1_27scan_by_key_config_selectorImiEEZZNS1_16scan_by_key_implILNS1_25lookback_scan_determinismE0ELb0ES3_N6thrust23THRUST_200600_302600_NS18transform_iteratorI9row_indexNS9_17counting_iteratorImNS9_11use_defaultESD_SD_EESD_SD_EENS9_6detail15normal_iteratorINS9_10device_ptrIiEEEESK_iNS9_4plusIvEENS9_8equal_toIvEEiEE10hipError_tPvRmT2_T3_T4_T5_mT6_T7_P12ihipStream_tbENKUlT_T0_E_clISt17integral_constantIbLb1EES15_EEDaS10_S11_EUlS10_E_NS1_11comp_targetILNS1_3genE0ELNS1_11target_archE4294967295ELNS1_3gpuE0ELNS1_3repE0EEENS1_30default_config_static_selectorELNS0_4arch9wavefront6targetE1EEEvT1_.numbered_sgpr, 0
	.set _ZN7rocprim17ROCPRIM_400000_NS6detail17trampoline_kernelINS0_14default_configENS1_27scan_by_key_config_selectorImiEEZZNS1_16scan_by_key_implILNS1_25lookback_scan_determinismE0ELb0ES3_N6thrust23THRUST_200600_302600_NS18transform_iteratorI9row_indexNS9_17counting_iteratorImNS9_11use_defaultESD_SD_EESD_SD_EENS9_6detail15normal_iteratorINS9_10device_ptrIiEEEESK_iNS9_4plusIvEENS9_8equal_toIvEEiEE10hipError_tPvRmT2_T3_T4_T5_mT6_T7_P12ihipStream_tbENKUlT_T0_E_clISt17integral_constantIbLb1EES15_EEDaS10_S11_EUlS10_E_NS1_11comp_targetILNS1_3genE0ELNS1_11target_archE4294967295ELNS1_3gpuE0ELNS1_3repE0EEENS1_30default_config_static_selectorELNS0_4arch9wavefront6targetE1EEEvT1_.num_named_barrier, 0
	.set _ZN7rocprim17ROCPRIM_400000_NS6detail17trampoline_kernelINS0_14default_configENS1_27scan_by_key_config_selectorImiEEZZNS1_16scan_by_key_implILNS1_25lookback_scan_determinismE0ELb0ES3_N6thrust23THRUST_200600_302600_NS18transform_iteratorI9row_indexNS9_17counting_iteratorImNS9_11use_defaultESD_SD_EESD_SD_EENS9_6detail15normal_iteratorINS9_10device_ptrIiEEEESK_iNS9_4plusIvEENS9_8equal_toIvEEiEE10hipError_tPvRmT2_T3_T4_T5_mT6_T7_P12ihipStream_tbENKUlT_T0_E_clISt17integral_constantIbLb1EES15_EEDaS10_S11_EUlS10_E_NS1_11comp_targetILNS1_3genE0ELNS1_11target_archE4294967295ELNS1_3gpuE0ELNS1_3repE0EEENS1_30default_config_static_selectorELNS0_4arch9wavefront6targetE1EEEvT1_.private_seg_size, 0
	.set _ZN7rocprim17ROCPRIM_400000_NS6detail17trampoline_kernelINS0_14default_configENS1_27scan_by_key_config_selectorImiEEZZNS1_16scan_by_key_implILNS1_25lookback_scan_determinismE0ELb0ES3_N6thrust23THRUST_200600_302600_NS18transform_iteratorI9row_indexNS9_17counting_iteratorImNS9_11use_defaultESD_SD_EESD_SD_EENS9_6detail15normal_iteratorINS9_10device_ptrIiEEEESK_iNS9_4plusIvEENS9_8equal_toIvEEiEE10hipError_tPvRmT2_T3_T4_T5_mT6_T7_P12ihipStream_tbENKUlT_T0_E_clISt17integral_constantIbLb1EES15_EEDaS10_S11_EUlS10_E_NS1_11comp_targetILNS1_3genE0ELNS1_11target_archE4294967295ELNS1_3gpuE0ELNS1_3repE0EEENS1_30default_config_static_selectorELNS0_4arch9wavefront6targetE1EEEvT1_.uses_vcc, 0
	.set _ZN7rocprim17ROCPRIM_400000_NS6detail17trampoline_kernelINS0_14default_configENS1_27scan_by_key_config_selectorImiEEZZNS1_16scan_by_key_implILNS1_25lookback_scan_determinismE0ELb0ES3_N6thrust23THRUST_200600_302600_NS18transform_iteratorI9row_indexNS9_17counting_iteratorImNS9_11use_defaultESD_SD_EESD_SD_EENS9_6detail15normal_iteratorINS9_10device_ptrIiEEEESK_iNS9_4plusIvEENS9_8equal_toIvEEiEE10hipError_tPvRmT2_T3_T4_T5_mT6_T7_P12ihipStream_tbENKUlT_T0_E_clISt17integral_constantIbLb1EES15_EEDaS10_S11_EUlS10_E_NS1_11comp_targetILNS1_3genE0ELNS1_11target_archE4294967295ELNS1_3gpuE0ELNS1_3repE0EEENS1_30default_config_static_selectorELNS0_4arch9wavefront6targetE1EEEvT1_.uses_flat_scratch, 0
	.set _ZN7rocprim17ROCPRIM_400000_NS6detail17trampoline_kernelINS0_14default_configENS1_27scan_by_key_config_selectorImiEEZZNS1_16scan_by_key_implILNS1_25lookback_scan_determinismE0ELb0ES3_N6thrust23THRUST_200600_302600_NS18transform_iteratorI9row_indexNS9_17counting_iteratorImNS9_11use_defaultESD_SD_EESD_SD_EENS9_6detail15normal_iteratorINS9_10device_ptrIiEEEESK_iNS9_4plusIvEENS9_8equal_toIvEEiEE10hipError_tPvRmT2_T3_T4_T5_mT6_T7_P12ihipStream_tbENKUlT_T0_E_clISt17integral_constantIbLb1EES15_EEDaS10_S11_EUlS10_E_NS1_11comp_targetILNS1_3genE0ELNS1_11target_archE4294967295ELNS1_3gpuE0ELNS1_3repE0EEENS1_30default_config_static_selectorELNS0_4arch9wavefront6targetE1EEEvT1_.has_dyn_sized_stack, 0
	.set _ZN7rocprim17ROCPRIM_400000_NS6detail17trampoline_kernelINS0_14default_configENS1_27scan_by_key_config_selectorImiEEZZNS1_16scan_by_key_implILNS1_25lookback_scan_determinismE0ELb0ES3_N6thrust23THRUST_200600_302600_NS18transform_iteratorI9row_indexNS9_17counting_iteratorImNS9_11use_defaultESD_SD_EESD_SD_EENS9_6detail15normal_iteratorINS9_10device_ptrIiEEEESK_iNS9_4plusIvEENS9_8equal_toIvEEiEE10hipError_tPvRmT2_T3_T4_T5_mT6_T7_P12ihipStream_tbENKUlT_T0_E_clISt17integral_constantIbLb1EES15_EEDaS10_S11_EUlS10_E_NS1_11comp_targetILNS1_3genE0ELNS1_11target_archE4294967295ELNS1_3gpuE0ELNS1_3repE0EEENS1_30default_config_static_selectorELNS0_4arch9wavefront6targetE1EEEvT1_.has_recursion, 0
	.set _ZN7rocprim17ROCPRIM_400000_NS6detail17trampoline_kernelINS0_14default_configENS1_27scan_by_key_config_selectorImiEEZZNS1_16scan_by_key_implILNS1_25lookback_scan_determinismE0ELb0ES3_N6thrust23THRUST_200600_302600_NS18transform_iteratorI9row_indexNS9_17counting_iteratorImNS9_11use_defaultESD_SD_EESD_SD_EENS9_6detail15normal_iteratorINS9_10device_ptrIiEEEESK_iNS9_4plusIvEENS9_8equal_toIvEEiEE10hipError_tPvRmT2_T3_T4_T5_mT6_T7_P12ihipStream_tbENKUlT_T0_E_clISt17integral_constantIbLb1EES15_EEDaS10_S11_EUlS10_E_NS1_11comp_targetILNS1_3genE0ELNS1_11target_archE4294967295ELNS1_3gpuE0ELNS1_3repE0EEENS1_30default_config_static_selectorELNS0_4arch9wavefront6targetE1EEEvT1_.has_indirect_call, 0
	.section	.AMDGPU.csdata,"",@progbits
; Kernel info:
; codeLenInByte = 0
; TotalNumSgprs: 4
; NumVgprs: 0
; ScratchSize: 0
; MemoryBound: 0
; FloatMode: 240
; IeeeMode: 1
; LDSByteSize: 0 bytes/workgroup (compile time only)
; SGPRBlocks: 0
; VGPRBlocks: 0
; NumSGPRsForWavesPerEU: 4
; NumVGPRsForWavesPerEU: 1
; Occupancy: 10
; WaveLimiterHint : 0
; COMPUTE_PGM_RSRC2:SCRATCH_EN: 0
; COMPUTE_PGM_RSRC2:USER_SGPR: 6
; COMPUTE_PGM_RSRC2:TRAP_HANDLER: 0
; COMPUTE_PGM_RSRC2:TGID_X_EN: 1
; COMPUTE_PGM_RSRC2:TGID_Y_EN: 0
; COMPUTE_PGM_RSRC2:TGID_Z_EN: 0
; COMPUTE_PGM_RSRC2:TIDIG_COMP_CNT: 0
	.section	.text._ZN7rocprim17ROCPRIM_400000_NS6detail17trampoline_kernelINS0_14default_configENS1_27scan_by_key_config_selectorImiEEZZNS1_16scan_by_key_implILNS1_25lookback_scan_determinismE0ELb0ES3_N6thrust23THRUST_200600_302600_NS18transform_iteratorI9row_indexNS9_17counting_iteratorImNS9_11use_defaultESD_SD_EESD_SD_EENS9_6detail15normal_iteratorINS9_10device_ptrIiEEEESK_iNS9_4plusIvEENS9_8equal_toIvEEiEE10hipError_tPvRmT2_T3_T4_T5_mT6_T7_P12ihipStream_tbENKUlT_T0_E_clISt17integral_constantIbLb1EES15_EEDaS10_S11_EUlS10_E_NS1_11comp_targetILNS1_3genE10ELNS1_11target_archE1201ELNS1_3gpuE5ELNS1_3repE0EEENS1_30default_config_static_selectorELNS0_4arch9wavefront6targetE1EEEvT1_,"axG",@progbits,_ZN7rocprim17ROCPRIM_400000_NS6detail17trampoline_kernelINS0_14default_configENS1_27scan_by_key_config_selectorImiEEZZNS1_16scan_by_key_implILNS1_25lookback_scan_determinismE0ELb0ES3_N6thrust23THRUST_200600_302600_NS18transform_iteratorI9row_indexNS9_17counting_iteratorImNS9_11use_defaultESD_SD_EESD_SD_EENS9_6detail15normal_iteratorINS9_10device_ptrIiEEEESK_iNS9_4plusIvEENS9_8equal_toIvEEiEE10hipError_tPvRmT2_T3_T4_T5_mT6_T7_P12ihipStream_tbENKUlT_T0_E_clISt17integral_constantIbLb1EES15_EEDaS10_S11_EUlS10_E_NS1_11comp_targetILNS1_3genE10ELNS1_11target_archE1201ELNS1_3gpuE5ELNS1_3repE0EEENS1_30default_config_static_selectorELNS0_4arch9wavefront6targetE1EEEvT1_,comdat
	.protected	_ZN7rocprim17ROCPRIM_400000_NS6detail17trampoline_kernelINS0_14default_configENS1_27scan_by_key_config_selectorImiEEZZNS1_16scan_by_key_implILNS1_25lookback_scan_determinismE0ELb0ES3_N6thrust23THRUST_200600_302600_NS18transform_iteratorI9row_indexNS9_17counting_iteratorImNS9_11use_defaultESD_SD_EESD_SD_EENS9_6detail15normal_iteratorINS9_10device_ptrIiEEEESK_iNS9_4plusIvEENS9_8equal_toIvEEiEE10hipError_tPvRmT2_T3_T4_T5_mT6_T7_P12ihipStream_tbENKUlT_T0_E_clISt17integral_constantIbLb1EES15_EEDaS10_S11_EUlS10_E_NS1_11comp_targetILNS1_3genE10ELNS1_11target_archE1201ELNS1_3gpuE5ELNS1_3repE0EEENS1_30default_config_static_selectorELNS0_4arch9wavefront6targetE1EEEvT1_ ; -- Begin function _ZN7rocprim17ROCPRIM_400000_NS6detail17trampoline_kernelINS0_14default_configENS1_27scan_by_key_config_selectorImiEEZZNS1_16scan_by_key_implILNS1_25lookback_scan_determinismE0ELb0ES3_N6thrust23THRUST_200600_302600_NS18transform_iteratorI9row_indexNS9_17counting_iteratorImNS9_11use_defaultESD_SD_EESD_SD_EENS9_6detail15normal_iteratorINS9_10device_ptrIiEEEESK_iNS9_4plusIvEENS9_8equal_toIvEEiEE10hipError_tPvRmT2_T3_T4_T5_mT6_T7_P12ihipStream_tbENKUlT_T0_E_clISt17integral_constantIbLb1EES15_EEDaS10_S11_EUlS10_E_NS1_11comp_targetILNS1_3genE10ELNS1_11target_archE1201ELNS1_3gpuE5ELNS1_3repE0EEENS1_30default_config_static_selectorELNS0_4arch9wavefront6targetE1EEEvT1_
	.globl	_ZN7rocprim17ROCPRIM_400000_NS6detail17trampoline_kernelINS0_14default_configENS1_27scan_by_key_config_selectorImiEEZZNS1_16scan_by_key_implILNS1_25lookback_scan_determinismE0ELb0ES3_N6thrust23THRUST_200600_302600_NS18transform_iteratorI9row_indexNS9_17counting_iteratorImNS9_11use_defaultESD_SD_EESD_SD_EENS9_6detail15normal_iteratorINS9_10device_ptrIiEEEESK_iNS9_4plusIvEENS9_8equal_toIvEEiEE10hipError_tPvRmT2_T3_T4_T5_mT6_T7_P12ihipStream_tbENKUlT_T0_E_clISt17integral_constantIbLb1EES15_EEDaS10_S11_EUlS10_E_NS1_11comp_targetILNS1_3genE10ELNS1_11target_archE1201ELNS1_3gpuE5ELNS1_3repE0EEENS1_30default_config_static_selectorELNS0_4arch9wavefront6targetE1EEEvT1_
	.p2align	8
	.type	_ZN7rocprim17ROCPRIM_400000_NS6detail17trampoline_kernelINS0_14default_configENS1_27scan_by_key_config_selectorImiEEZZNS1_16scan_by_key_implILNS1_25lookback_scan_determinismE0ELb0ES3_N6thrust23THRUST_200600_302600_NS18transform_iteratorI9row_indexNS9_17counting_iteratorImNS9_11use_defaultESD_SD_EESD_SD_EENS9_6detail15normal_iteratorINS9_10device_ptrIiEEEESK_iNS9_4plusIvEENS9_8equal_toIvEEiEE10hipError_tPvRmT2_T3_T4_T5_mT6_T7_P12ihipStream_tbENKUlT_T0_E_clISt17integral_constantIbLb1EES15_EEDaS10_S11_EUlS10_E_NS1_11comp_targetILNS1_3genE10ELNS1_11target_archE1201ELNS1_3gpuE5ELNS1_3repE0EEENS1_30default_config_static_selectorELNS0_4arch9wavefront6targetE1EEEvT1_,@function
_ZN7rocprim17ROCPRIM_400000_NS6detail17trampoline_kernelINS0_14default_configENS1_27scan_by_key_config_selectorImiEEZZNS1_16scan_by_key_implILNS1_25lookback_scan_determinismE0ELb0ES3_N6thrust23THRUST_200600_302600_NS18transform_iteratorI9row_indexNS9_17counting_iteratorImNS9_11use_defaultESD_SD_EESD_SD_EENS9_6detail15normal_iteratorINS9_10device_ptrIiEEEESK_iNS9_4plusIvEENS9_8equal_toIvEEiEE10hipError_tPvRmT2_T3_T4_T5_mT6_T7_P12ihipStream_tbENKUlT_T0_E_clISt17integral_constantIbLb1EES15_EEDaS10_S11_EUlS10_E_NS1_11comp_targetILNS1_3genE10ELNS1_11target_archE1201ELNS1_3gpuE5ELNS1_3repE0EEENS1_30default_config_static_selectorELNS0_4arch9wavefront6targetE1EEEvT1_: ; @_ZN7rocprim17ROCPRIM_400000_NS6detail17trampoline_kernelINS0_14default_configENS1_27scan_by_key_config_selectorImiEEZZNS1_16scan_by_key_implILNS1_25lookback_scan_determinismE0ELb0ES3_N6thrust23THRUST_200600_302600_NS18transform_iteratorI9row_indexNS9_17counting_iteratorImNS9_11use_defaultESD_SD_EESD_SD_EENS9_6detail15normal_iteratorINS9_10device_ptrIiEEEESK_iNS9_4plusIvEENS9_8equal_toIvEEiEE10hipError_tPvRmT2_T3_T4_T5_mT6_T7_P12ihipStream_tbENKUlT_T0_E_clISt17integral_constantIbLb1EES15_EEDaS10_S11_EUlS10_E_NS1_11comp_targetILNS1_3genE10ELNS1_11target_archE1201ELNS1_3gpuE5ELNS1_3repE0EEENS1_30default_config_static_selectorELNS0_4arch9wavefront6targetE1EEEvT1_
; %bb.0:
	.section	.rodata,"a",@progbits
	.p2align	6, 0x0
	.amdhsa_kernel _ZN7rocprim17ROCPRIM_400000_NS6detail17trampoline_kernelINS0_14default_configENS1_27scan_by_key_config_selectorImiEEZZNS1_16scan_by_key_implILNS1_25lookback_scan_determinismE0ELb0ES3_N6thrust23THRUST_200600_302600_NS18transform_iteratorI9row_indexNS9_17counting_iteratorImNS9_11use_defaultESD_SD_EESD_SD_EENS9_6detail15normal_iteratorINS9_10device_ptrIiEEEESK_iNS9_4plusIvEENS9_8equal_toIvEEiEE10hipError_tPvRmT2_T3_T4_T5_mT6_T7_P12ihipStream_tbENKUlT_T0_E_clISt17integral_constantIbLb1EES15_EEDaS10_S11_EUlS10_E_NS1_11comp_targetILNS1_3genE10ELNS1_11target_archE1201ELNS1_3gpuE5ELNS1_3repE0EEENS1_30default_config_static_selectorELNS0_4arch9wavefront6targetE1EEEvT1_
		.amdhsa_group_segment_fixed_size 0
		.amdhsa_private_segment_fixed_size 0
		.amdhsa_kernarg_size 120
		.amdhsa_user_sgpr_count 6
		.amdhsa_user_sgpr_private_segment_buffer 1
		.amdhsa_user_sgpr_dispatch_ptr 0
		.amdhsa_user_sgpr_queue_ptr 0
		.amdhsa_user_sgpr_kernarg_segment_ptr 1
		.amdhsa_user_sgpr_dispatch_id 0
		.amdhsa_user_sgpr_flat_scratch_init 0
		.amdhsa_user_sgpr_private_segment_size 0
		.amdhsa_uses_dynamic_stack 0
		.amdhsa_system_sgpr_private_segment_wavefront_offset 0
		.amdhsa_system_sgpr_workgroup_id_x 1
		.amdhsa_system_sgpr_workgroup_id_y 0
		.amdhsa_system_sgpr_workgroup_id_z 0
		.amdhsa_system_sgpr_workgroup_info 0
		.amdhsa_system_vgpr_workitem_id 0
		.amdhsa_next_free_vgpr 1
		.amdhsa_next_free_sgpr 0
		.amdhsa_reserve_vcc 0
		.amdhsa_reserve_flat_scratch 0
		.amdhsa_float_round_mode_32 0
		.amdhsa_float_round_mode_16_64 0
		.amdhsa_float_denorm_mode_32 3
		.amdhsa_float_denorm_mode_16_64 3
		.amdhsa_dx10_clamp 1
		.amdhsa_ieee_mode 1
		.amdhsa_fp16_overflow 0
		.amdhsa_exception_fp_ieee_invalid_op 0
		.amdhsa_exception_fp_denorm_src 0
		.amdhsa_exception_fp_ieee_div_zero 0
		.amdhsa_exception_fp_ieee_overflow 0
		.amdhsa_exception_fp_ieee_underflow 0
		.amdhsa_exception_fp_ieee_inexact 0
		.amdhsa_exception_int_div_zero 0
	.end_amdhsa_kernel
	.section	.text._ZN7rocprim17ROCPRIM_400000_NS6detail17trampoline_kernelINS0_14default_configENS1_27scan_by_key_config_selectorImiEEZZNS1_16scan_by_key_implILNS1_25lookback_scan_determinismE0ELb0ES3_N6thrust23THRUST_200600_302600_NS18transform_iteratorI9row_indexNS9_17counting_iteratorImNS9_11use_defaultESD_SD_EESD_SD_EENS9_6detail15normal_iteratorINS9_10device_ptrIiEEEESK_iNS9_4plusIvEENS9_8equal_toIvEEiEE10hipError_tPvRmT2_T3_T4_T5_mT6_T7_P12ihipStream_tbENKUlT_T0_E_clISt17integral_constantIbLb1EES15_EEDaS10_S11_EUlS10_E_NS1_11comp_targetILNS1_3genE10ELNS1_11target_archE1201ELNS1_3gpuE5ELNS1_3repE0EEENS1_30default_config_static_selectorELNS0_4arch9wavefront6targetE1EEEvT1_,"axG",@progbits,_ZN7rocprim17ROCPRIM_400000_NS6detail17trampoline_kernelINS0_14default_configENS1_27scan_by_key_config_selectorImiEEZZNS1_16scan_by_key_implILNS1_25lookback_scan_determinismE0ELb0ES3_N6thrust23THRUST_200600_302600_NS18transform_iteratorI9row_indexNS9_17counting_iteratorImNS9_11use_defaultESD_SD_EESD_SD_EENS9_6detail15normal_iteratorINS9_10device_ptrIiEEEESK_iNS9_4plusIvEENS9_8equal_toIvEEiEE10hipError_tPvRmT2_T3_T4_T5_mT6_T7_P12ihipStream_tbENKUlT_T0_E_clISt17integral_constantIbLb1EES15_EEDaS10_S11_EUlS10_E_NS1_11comp_targetILNS1_3genE10ELNS1_11target_archE1201ELNS1_3gpuE5ELNS1_3repE0EEENS1_30default_config_static_selectorELNS0_4arch9wavefront6targetE1EEEvT1_,comdat
.Lfunc_end15:
	.size	_ZN7rocprim17ROCPRIM_400000_NS6detail17trampoline_kernelINS0_14default_configENS1_27scan_by_key_config_selectorImiEEZZNS1_16scan_by_key_implILNS1_25lookback_scan_determinismE0ELb0ES3_N6thrust23THRUST_200600_302600_NS18transform_iteratorI9row_indexNS9_17counting_iteratorImNS9_11use_defaultESD_SD_EESD_SD_EENS9_6detail15normal_iteratorINS9_10device_ptrIiEEEESK_iNS9_4plusIvEENS9_8equal_toIvEEiEE10hipError_tPvRmT2_T3_T4_T5_mT6_T7_P12ihipStream_tbENKUlT_T0_E_clISt17integral_constantIbLb1EES15_EEDaS10_S11_EUlS10_E_NS1_11comp_targetILNS1_3genE10ELNS1_11target_archE1201ELNS1_3gpuE5ELNS1_3repE0EEENS1_30default_config_static_selectorELNS0_4arch9wavefront6targetE1EEEvT1_, .Lfunc_end15-_ZN7rocprim17ROCPRIM_400000_NS6detail17trampoline_kernelINS0_14default_configENS1_27scan_by_key_config_selectorImiEEZZNS1_16scan_by_key_implILNS1_25lookback_scan_determinismE0ELb0ES3_N6thrust23THRUST_200600_302600_NS18transform_iteratorI9row_indexNS9_17counting_iteratorImNS9_11use_defaultESD_SD_EESD_SD_EENS9_6detail15normal_iteratorINS9_10device_ptrIiEEEESK_iNS9_4plusIvEENS9_8equal_toIvEEiEE10hipError_tPvRmT2_T3_T4_T5_mT6_T7_P12ihipStream_tbENKUlT_T0_E_clISt17integral_constantIbLb1EES15_EEDaS10_S11_EUlS10_E_NS1_11comp_targetILNS1_3genE10ELNS1_11target_archE1201ELNS1_3gpuE5ELNS1_3repE0EEENS1_30default_config_static_selectorELNS0_4arch9wavefront6targetE1EEEvT1_
                                        ; -- End function
	.set _ZN7rocprim17ROCPRIM_400000_NS6detail17trampoline_kernelINS0_14default_configENS1_27scan_by_key_config_selectorImiEEZZNS1_16scan_by_key_implILNS1_25lookback_scan_determinismE0ELb0ES3_N6thrust23THRUST_200600_302600_NS18transform_iteratorI9row_indexNS9_17counting_iteratorImNS9_11use_defaultESD_SD_EESD_SD_EENS9_6detail15normal_iteratorINS9_10device_ptrIiEEEESK_iNS9_4plusIvEENS9_8equal_toIvEEiEE10hipError_tPvRmT2_T3_T4_T5_mT6_T7_P12ihipStream_tbENKUlT_T0_E_clISt17integral_constantIbLb1EES15_EEDaS10_S11_EUlS10_E_NS1_11comp_targetILNS1_3genE10ELNS1_11target_archE1201ELNS1_3gpuE5ELNS1_3repE0EEENS1_30default_config_static_selectorELNS0_4arch9wavefront6targetE1EEEvT1_.num_vgpr, 0
	.set _ZN7rocprim17ROCPRIM_400000_NS6detail17trampoline_kernelINS0_14default_configENS1_27scan_by_key_config_selectorImiEEZZNS1_16scan_by_key_implILNS1_25lookback_scan_determinismE0ELb0ES3_N6thrust23THRUST_200600_302600_NS18transform_iteratorI9row_indexNS9_17counting_iteratorImNS9_11use_defaultESD_SD_EESD_SD_EENS9_6detail15normal_iteratorINS9_10device_ptrIiEEEESK_iNS9_4plusIvEENS9_8equal_toIvEEiEE10hipError_tPvRmT2_T3_T4_T5_mT6_T7_P12ihipStream_tbENKUlT_T0_E_clISt17integral_constantIbLb1EES15_EEDaS10_S11_EUlS10_E_NS1_11comp_targetILNS1_3genE10ELNS1_11target_archE1201ELNS1_3gpuE5ELNS1_3repE0EEENS1_30default_config_static_selectorELNS0_4arch9wavefront6targetE1EEEvT1_.num_agpr, 0
	.set _ZN7rocprim17ROCPRIM_400000_NS6detail17trampoline_kernelINS0_14default_configENS1_27scan_by_key_config_selectorImiEEZZNS1_16scan_by_key_implILNS1_25lookback_scan_determinismE0ELb0ES3_N6thrust23THRUST_200600_302600_NS18transform_iteratorI9row_indexNS9_17counting_iteratorImNS9_11use_defaultESD_SD_EESD_SD_EENS9_6detail15normal_iteratorINS9_10device_ptrIiEEEESK_iNS9_4plusIvEENS9_8equal_toIvEEiEE10hipError_tPvRmT2_T3_T4_T5_mT6_T7_P12ihipStream_tbENKUlT_T0_E_clISt17integral_constantIbLb1EES15_EEDaS10_S11_EUlS10_E_NS1_11comp_targetILNS1_3genE10ELNS1_11target_archE1201ELNS1_3gpuE5ELNS1_3repE0EEENS1_30default_config_static_selectorELNS0_4arch9wavefront6targetE1EEEvT1_.numbered_sgpr, 0
	.set _ZN7rocprim17ROCPRIM_400000_NS6detail17trampoline_kernelINS0_14default_configENS1_27scan_by_key_config_selectorImiEEZZNS1_16scan_by_key_implILNS1_25lookback_scan_determinismE0ELb0ES3_N6thrust23THRUST_200600_302600_NS18transform_iteratorI9row_indexNS9_17counting_iteratorImNS9_11use_defaultESD_SD_EESD_SD_EENS9_6detail15normal_iteratorINS9_10device_ptrIiEEEESK_iNS9_4plusIvEENS9_8equal_toIvEEiEE10hipError_tPvRmT2_T3_T4_T5_mT6_T7_P12ihipStream_tbENKUlT_T0_E_clISt17integral_constantIbLb1EES15_EEDaS10_S11_EUlS10_E_NS1_11comp_targetILNS1_3genE10ELNS1_11target_archE1201ELNS1_3gpuE5ELNS1_3repE0EEENS1_30default_config_static_selectorELNS0_4arch9wavefront6targetE1EEEvT1_.num_named_barrier, 0
	.set _ZN7rocprim17ROCPRIM_400000_NS6detail17trampoline_kernelINS0_14default_configENS1_27scan_by_key_config_selectorImiEEZZNS1_16scan_by_key_implILNS1_25lookback_scan_determinismE0ELb0ES3_N6thrust23THRUST_200600_302600_NS18transform_iteratorI9row_indexNS9_17counting_iteratorImNS9_11use_defaultESD_SD_EESD_SD_EENS9_6detail15normal_iteratorINS9_10device_ptrIiEEEESK_iNS9_4plusIvEENS9_8equal_toIvEEiEE10hipError_tPvRmT2_T3_T4_T5_mT6_T7_P12ihipStream_tbENKUlT_T0_E_clISt17integral_constantIbLb1EES15_EEDaS10_S11_EUlS10_E_NS1_11comp_targetILNS1_3genE10ELNS1_11target_archE1201ELNS1_3gpuE5ELNS1_3repE0EEENS1_30default_config_static_selectorELNS0_4arch9wavefront6targetE1EEEvT1_.private_seg_size, 0
	.set _ZN7rocprim17ROCPRIM_400000_NS6detail17trampoline_kernelINS0_14default_configENS1_27scan_by_key_config_selectorImiEEZZNS1_16scan_by_key_implILNS1_25lookback_scan_determinismE0ELb0ES3_N6thrust23THRUST_200600_302600_NS18transform_iteratorI9row_indexNS9_17counting_iteratorImNS9_11use_defaultESD_SD_EESD_SD_EENS9_6detail15normal_iteratorINS9_10device_ptrIiEEEESK_iNS9_4plusIvEENS9_8equal_toIvEEiEE10hipError_tPvRmT2_T3_T4_T5_mT6_T7_P12ihipStream_tbENKUlT_T0_E_clISt17integral_constantIbLb1EES15_EEDaS10_S11_EUlS10_E_NS1_11comp_targetILNS1_3genE10ELNS1_11target_archE1201ELNS1_3gpuE5ELNS1_3repE0EEENS1_30default_config_static_selectorELNS0_4arch9wavefront6targetE1EEEvT1_.uses_vcc, 0
	.set _ZN7rocprim17ROCPRIM_400000_NS6detail17trampoline_kernelINS0_14default_configENS1_27scan_by_key_config_selectorImiEEZZNS1_16scan_by_key_implILNS1_25lookback_scan_determinismE0ELb0ES3_N6thrust23THRUST_200600_302600_NS18transform_iteratorI9row_indexNS9_17counting_iteratorImNS9_11use_defaultESD_SD_EESD_SD_EENS9_6detail15normal_iteratorINS9_10device_ptrIiEEEESK_iNS9_4plusIvEENS9_8equal_toIvEEiEE10hipError_tPvRmT2_T3_T4_T5_mT6_T7_P12ihipStream_tbENKUlT_T0_E_clISt17integral_constantIbLb1EES15_EEDaS10_S11_EUlS10_E_NS1_11comp_targetILNS1_3genE10ELNS1_11target_archE1201ELNS1_3gpuE5ELNS1_3repE0EEENS1_30default_config_static_selectorELNS0_4arch9wavefront6targetE1EEEvT1_.uses_flat_scratch, 0
	.set _ZN7rocprim17ROCPRIM_400000_NS6detail17trampoline_kernelINS0_14default_configENS1_27scan_by_key_config_selectorImiEEZZNS1_16scan_by_key_implILNS1_25lookback_scan_determinismE0ELb0ES3_N6thrust23THRUST_200600_302600_NS18transform_iteratorI9row_indexNS9_17counting_iteratorImNS9_11use_defaultESD_SD_EESD_SD_EENS9_6detail15normal_iteratorINS9_10device_ptrIiEEEESK_iNS9_4plusIvEENS9_8equal_toIvEEiEE10hipError_tPvRmT2_T3_T4_T5_mT6_T7_P12ihipStream_tbENKUlT_T0_E_clISt17integral_constantIbLb1EES15_EEDaS10_S11_EUlS10_E_NS1_11comp_targetILNS1_3genE10ELNS1_11target_archE1201ELNS1_3gpuE5ELNS1_3repE0EEENS1_30default_config_static_selectorELNS0_4arch9wavefront6targetE1EEEvT1_.has_dyn_sized_stack, 0
	.set _ZN7rocprim17ROCPRIM_400000_NS6detail17trampoline_kernelINS0_14default_configENS1_27scan_by_key_config_selectorImiEEZZNS1_16scan_by_key_implILNS1_25lookback_scan_determinismE0ELb0ES3_N6thrust23THRUST_200600_302600_NS18transform_iteratorI9row_indexNS9_17counting_iteratorImNS9_11use_defaultESD_SD_EESD_SD_EENS9_6detail15normal_iteratorINS9_10device_ptrIiEEEESK_iNS9_4plusIvEENS9_8equal_toIvEEiEE10hipError_tPvRmT2_T3_T4_T5_mT6_T7_P12ihipStream_tbENKUlT_T0_E_clISt17integral_constantIbLb1EES15_EEDaS10_S11_EUlS10_E_NS1_11comp_targetILNS1_3genE10ELNS1_11target_archE1201ELNS1_3gpuE5ELNS1_3repE0EEENS1_30default_config_static_selectorELNS0_4arch9wavefront6targetE1EEEvT1_.has_recursion, 0
	.set _ZN7rocprim17ROCPRIM_400000_NS6detail17trampoline_kernelINS0_14default_configENS1_27scan_by_key_config_selectorImiEEZZNS1_16scan_by_key_implILNS1_25lookback_scan_determinismE0ELb0ES3_N6thrust23THRUST_200600_302600_NS18transform_iteratorI9row_indexNS9_17counting_iteratorImNS9_11use_defaultESD_SD_EESD_SD_EENS9_6detail15normal_iteratorINS9_10device_ptrIiEEEESK_iNS9_4plusIvEENS9_8equal_toIvEEiEE10hipError_tPvRmT2_T3_T4_T5_mT6_T7_P12ihipStream_tbENKUlT_T0_E_clISt17integral_constantIbLb1EES15_EEDaS10_S11_EUlS10_E_NS1_11comp_targetILNS1_3genE10ELNS1_11target_archE1201ELNS1_3gpuE5ELNS1_3repE0EEENS1_30default_config_static_selectorELNS0_4arch9wavefront6targetE1EEEvT1_.has_indirect_call, 0
	.section	.AMDGPU.csdata,"",@progbits
; Kernel info:
; codeLenInByte = 0
; TotalNumSgprs: 4
; NumVgprs: 0
; ScratchSize: 0
; MemoryBound: 0
; FloatMode: 240
; IeeeMode: 1
; LDSByteSize: 0 bytes/workgroup (compile time only)
; SGPRBlocks: 0
; VGPRBlocks: 0
; NumSGPRsForWavesPerEU: 4
; NumVGPRsForWavesPerEU: 1
; Occupancy: 10
; WaveLimiterHint : 0
; COMPUTE_PGM_RSRC2:SCRATCH_EN: 0
; COMPUTE_PGM_RSRC2:USER_SGPR: 6
; COMPUTE_PGM_RSRC2:TRAP_HANDLER: 0
; COMPUTE_PGM_RSRC2:TGID_X_EN: 1
; COMPUTE_PGM_RSRC2:TGID_Y_EN: 0
; COMPUTE_PGM_RSRC2:TGID_Z_EN: 0
; COMPUTE_PGM_RSRC2:TIDIG_COMP_CNT: 0
	.section	.text._ZN7rocprim17ROCPRIM_400000_NS6detail17trampoline_kernelINS0_14default_configENS1_27scan_by_key_config_selectorImiEEZZNS1_16scan_by_key_implILNS1_25lookback_scan_determinismE0ELb0ES3_N6thrust23THRUST_200600_302600_NS18transform_iteratorI9row_indexNS9_17counting_iteratorImNS9_11use_defaultESD_SD_EESD_SD_EENS9_6detail15normal_iteratorINS9_10device_ptrIiEEEESK_iNS9_4plusIvEENS9_8equal_toIvEEiEE10hipError_tPvRmT2_T3_T4_T5_mT6_T7_P12ihipStream_tbENKUlT_T0_E_clISt17integral_constantIbLb1EES15_EEDaS10_S11_EUlS10_E_NS1_11comp_targetILNS1_3genE5ELNS1_11target_archE942ELNS1_3gpuE9ELNS1_3repE0EEENS1_30default_config_static_selectorELNS0_4arch9wavefront6targetE1EEEvT1_,"axG",@progbits,_ZN7rocprim17ROCPRIM_400000_NS6detail17trampoline_kernelINS0_14default_configENS1_27scan_by_key_config_selectorImiEEZZNS1_16scan_by_key_implILNS1_25lookback_scan_determinismE0ELb0ES3_N6thrust23THRUST_200600_302600_NS18transform_iteratorI9row_indexNS9_17counting_iteratorImNS9_11use_defaultESD_SD_EESD_SD_EENS9_6detail15normal_iteratorINS9_10device_ptrIiEEEESK_iNS9_4plusIvEENS9_8equal_toIvEEiEE10hipError_tPvRmT2_T3_T4_T5_mT6_T7_P12ihipStream_tbENKUlT_T0_E_clISt17integral_constantIbLb1EES15_EEDaS10_S11_EUlS10_E_NS1_11comp_targetILNS1_3genE5ELNS1_11target_archE942ELNS1_3gpuE9ELNS1_3repE0EEENS1_30default_config_static_selectorELNS0_4arch9wavefront6targetE1EEEvT1_,comdat
	.protected	_ZN7rocprim17ROCPRIM_400000_NS6detail17trampoline_kernelINS0_14default_configENS1_27scan_by_key_config_selectorImiEEZZNS1_16scan_by_key_implILNS1_25lookback_scan_determinismE0ELb0ES3_N6thrust23THRUST_200600_302600_NS18transform_iteratorI9row_indexNS9_17counting_iteratorImNS9_11use_defaultESD_SD_EESD_SD_EENS9_6detail15normal_iteratorINS9_10device_ptrIiEEEESK_iNS9_4plusIvEENS9_8equal_toIvEEiEE10hipError_tPvRmT2_T3_T4_T5_mT6_T7_P12ihipStream_tbENKUlT_T0_E_clISt17integral_constantIbLb1EES15_EEDaS10_S11_EUlS10_E_NS1_11comp_targetILNS1_3genE5ELNS1_11target_archE942ELNS1_3gpuE9ELNS1_3repE0EEENS1_30default_config_static_selectorELNS0_4arch9wavefront6targetE1EEEvT1_ ; -- Begin function _ZN7rocprim17ROCPRIM_400000_NS6detail17trampoline_kernelINS0_14default_configENS1_27scan_by_key_config_selectorImiEEZZNS1_16scan_by_key_implILNS1_25lookback_scan_determinismE0ELb0ES3_N6thrust23THRUST_200600_302600_NS18transform_iteratorI9row_indexNS9_17counting_iteratorImNS9_11use_defaultESD_SD_EESD_SD_EENS9_6detail15normal_iteratorINS9_10device_ptrIiEEEESK_iNS9_4plusIvEENS9_8equal_toIvEEiEE10hipError_tPvRmT2_T3_T4_T5_mT6_T7_P12ihipStream_tbENKUlT_T0_E_clISt17integral_constantIbLb1EES15_EEDaS10_S11_EUlS10_E_NS1_11comp_targetILNS1_3genE5ELNS1_11target_archE942ELNS1_3gpuE9ELNS1_3repE0EEENS1_30default_config_static_selectorELNS0_4arch9wavefront6targetE1EEEvT1_
	.globl	_ZN7rocprim17ROCPRIM_400000_NS6detail17trampoline_kernelINS0_14default_configENS1_27scan_by_key_config_selectorImiEEZZNS1_16scan_by_key_implILNS1_25lookback_scan_determinismE0ELb0ES3_N6thrust23THRUST_200600_302600_NS18transform_iteratorI9row_indexNS9_17counting_iteratorImNS9_11use_defaultESD_SD_EESD_SD_EENS9_6detail15normal_iteratorINS9_10device_ptrIiEEEESK_iNS9_4plusIvEENS9_8equal_toIvEEiEE10hipError_tPvRmT2_T3_T4_T5_mT6_T7_P12ihipStream_tbENKUlT_T0_E_clISt17integral_constantIbLb1EES15_EEDaS10_S11_EUlS10_E_NS1_11comp_targetILNS1_3genE5ELNS1_11target_archE942ELNS1_3gpuE9ELNS1_3repE0EEENS1_30default_config_static_selectorELNS0_4arch9wavefront6targetE1EEEvT1_
	.p2align	8
	.type	_ZN7rocprim17ROCPRIM_400000_NS6detail17trampoline_kernelINS0_14default_configENS1_27scan_by_key_config_selectorImiEEZZNS1_16scan_by_key_implILNS1_25lookback_scan_determinismE0ELb0ES3_N6thrust23THRUST_200600_302600_NS18transform_iteratorI9row_indexNS9_17counting_iteratorImNS9_11use_defaultESD_SD_EESD_SD_EENS9_6detail15normal_iteratorINS9_10device_ptrIiEEEESK_iNS9_4plusIvEENS9_8equal_toIvEEiEE10hipError_tPvRmT2_T3_T4_T5_mT6_T7_P12ihipStream_tbENKUlT_T0_E_clISt17integral_constantIbLb1EES15_EEDaS10_S11_EUlS10_E_NS1_11comp_targetILNS1_3genE5ELNS1_11target_archE942ELNS1_3gpuE9ELNS1_3repE0EEENS1_30default_config_static_selectorELNS0_4arch9wavefront6targetE1EEEvT1_,@function
_ZN7rocprim17ROCPRIM_400000_NS6detail17trampoline_kernelINS0_14default_configENS1_27scan_by_key_config_selectorImiEEZZNS1_16scan_by_key_implILNS1_25lookback_scan_determinismE0ELb0ES3_N6thrust23THRUST_200600_302600_NS18transform_iteratorI9row_indexNS9_17counting_iteratorImNS9_11use_defaultESD_SD_EESD_SD_EENS9_6detail15normal_iteratorINS9_10device_ptrIiEEEESK_iNS9_4plusIvEENS9_8equal_toIvEEiEE10hipError_tPvRmT2_T3_T4_T5_mT6_T7_P12ihipStream_tbENKUlT_T0_E_clISt17integral_constantIbLb1EES15_EEDaS10_S11_EUlS10_E_NS1_11comp_targetILNS1_3genE5ELNS1_11target_archE942ELNS1_3gpuE9ELNS1_3repE0EEENS1_30default_config_static_selectorELNS0_4arch9wavefront6targetE1EEEvT1_: ; @_ZN7rocprim17ROCPRIM_400000_NS6detail17trampoline_kernelINS0_14default_configENS1_27scan_by_key_config_selectorImiEEZZNS1_16scan_by_key_implILNS1_25lookback_scan_determinismE0ELb0ES3_N6thrust23THRUST_200600_302600_NS18transform_iteratorI9row_indexNS9_17counting_iteratorImNS9_11use_defaultESD_SD_EESD_SD_EENS9_6detail15normal_iteratorINS9_10device_ptrIiEEEESK_iNS9_4plusIvEENS9_8equal_toIvEEiEE10hipError_tPvRmT2_T3_T4_T5_mT6_T7_P12ihipStream_tbENKUlT_T0_E_clISt17integral_constantIbLb1EES15_EEDaS10_S11_EUlS10_E_NS1_11comp_targetILNS1_3genE5ELNS1_11target_archE942ELNS1_3gpuE9ELNS1_3repE0EEENS1_30default_config_static_selectorELNS0_4arch9wavefront6targetE1EEEvT1_
; %bb.0:
	.section	.rodata,"a",@progbits
	.p2align	6, 0x0
	.amdhsa_kernel _ZN7rocprim17ROCPRIM_400000_NS6detail17trampoline_kernelINS0_14default_configENS1_27scan_by_key_config_selectorImiEEZZNS1_16scan_by_key_implILNS1_25lookback_scan_determinismE0ELb0ES3_N6thrust23THRUST_200600_302600_NS18transform_iteratorI9row_indexNS9_17counting_iteratorImNS9_11use_defaultESD_SD_EESD_SD_EENS9_6detail15normal_iteratorINS9_10device_ptrIiEEEESK_iNS9_4plusIvEENS9_8equal_toIvEEiEE10hipError_tPvRmT2_T3_T4_T5_mT6_T7_P12ihipStream_tbENKUlT_T0_E_clISt17integral_constantIbLb1EES15_EEDaS10_S11_EUlS10_E_NS1_11comp_targetILNS1_3genE5ELNS1_11target_archE942ELNS1_3gpuE9ELNS1_3repE0EEENS1_30default_config_static_selectorELNS0_4arch9wavefront6targetE1EEEvT1_
		.amdhsa_group_segment_fixed_size 0
		.amdhsa_private_segment_fixed_size 0
		.amdhsa_kernarg_size 120
		.amdhsa_user_sgpr_count 6
		.amdhsa_user_sgpr_private_segment_buffer 1
		.amdhsa_user_sgpr_dispatch_ptr 0
		.amdhsa_user_sgpr_queue_ptr 0
		.amdhsa_user_sgpr_kernarg_segment_ptr 1
		.amdhsa_user_sgpr_dispatch_id 0
		.amdhsa_user_sgpr_flat_scratch_init 0
		.amdhsa_user_sgpr_private_segment_size 0
		.amdhsa_uses_dynamic_stack 0
		.amdhsa_system_sgpr_private_segment_wavefront_offset 0
		.amdhsa_system_sgpr_workgroup_id_x 1
		.amdhsa_system_sgpr_workgroup_id_y 0
		.amdhsa_system_sgpr_workgroup_id_z 0
		.amdhsa_system_sgpr_workgroup_info 0
		.amdhsa_system_vgpr_workitem_id 0
		.amdhsa_next_free_vgpr 1
		.amdhsa_next_free_sgpr 0
		.amdhsa_reserve_vcc 0
		.amdhsa_reserve_flat_scratch 0
		.amdhsa_float_round_mode_32 0
		.amdhsa_float_round_mode_16_64 0
		.amdhsa_float_denorm_mode_32 3
		.amdhsa_float_denorm_mode_16_64 3
		.amdhsa_dx10_clamp 1
		.amdhsa_ieee_mode 1
		.amdhsa_fp16_overflow 0
		.amdhsa_exception_fp_ieee_invalid_op 0
		.amdhsa_exception_fp_denorm_src 0
		.amdhsa_exception_fp_ieee_div_zero 0
		.amdhsa_exception_fp_ieee_overflow 0
		.amdhsa_exception_fp_ieee_underflow 0
		.amdhsa_exception_fp_ieee_inexact 0
		.amdhsa_exception_int_div_zero 0
	.end_amdhsa_kernel
	.section	.text._ZN7rocprim17ROCPRIM_400000_NS6detail17trampoline_kernelINS0_14default_configENS1_27scan_by_key_config_selectorImiEEZZNS1_16scan_by_key_implILNS1_25lookback_scan_determinismE0ELb0ES3_N6thrust23THRUST_200600_302600_NS18transform_iteratorI9row_indexNS9_17counting_iteratorImNS9_11use_defaultESD_SD_EESD_SD_EENS9_6detail15normal_iteratorINS9_10device_ptrIiEEEESK_iNS9_4plusIvEENS9_8equal_toIvEEiEE10hipError_tPvRmT2_T3_T4_T5_mT6_T7_P12ihipStream_tbENKUlT_T0_E_clISt17integral_constantIbLb1EES15_EEDaS10_S11_EUlS10_E_NS1_11comp_targetILNS1_3genE5ELNS1_11target_archE942ELNS1_3gpuE9ELNS1_3repE0EEENS1_30default_config_static_selectorELNS0_4arch9wavefront6targetE1EEEvT1_,"axG",@progbits,_ZN7rocprim17ROCPRIM_400000_NS6detail17trampoline_kernelINS0_14default_configENS1_27scan_by_key_config_selectorImiEEZZNS1_16scan_by_key_implILNS1_25lookback_scan_determinismE0ELb0ES3_N6thrust23THRUST_200600_302600_NS18transform_iteratorI9row_indexNS9_17counting_iteratorImNS9_11use_defaultESD_SD_EESD_SD_EENS9_6detail15normal_iteratorINS9_10device_ptrIiEEEESK_iNS9_4plusIvEENS9_8equal_toIvEEiEE10hipError_tPvRmT2_T3_T4_T5_mT6_T7_P12ihipStream_tbENKUlT_T0_E_clISt17integral_constantIbLb1EES15_EEDaS10_S11_EUlS10_E_NS1_11comp_targetILNS1_3genE5ELNS1_11target_archE942ELNS1_3gpuE9ELNS1_3repE0EEENS1_30default_config_static_selectorELNS0_4arch9wavefront6targetE1EEEvT1_,comdat
.Lfunc_end16:
	.size	_ZN7rocprim17ROCPRIM_400000_NS6detail17trampoline_kernelINS0_14default_configENS1_27scan_by_key_config_selectorImiEEZZNS1_16scan_by_key_implILNS1_25lookback_scan_determinismE0ELb0ES3_N6thrust23THRUST_200600_302600_NS18transform_iteratorI9row_indexNS9_17counting_iteratorImNS9_11use_defaultESD_SD_EESD_SD_EENS9_6detail15normal_iteratorINS9_10device_ptrIiEEEESK_iNS9_4plusIvEENS9_8equal_toIvEEiEE10hipError_tPvRmT2_T3_T4_T5_mT6_T7_P12ihipStream_tbENKUlT_T0_E_clISt17integral_constantIbLb1EES15_EEDaS10_S11_EUlS10_E_NS1_11comp_targetILNS1_3genE5ELNS1_11target_archE942ELNS1_3gpuE9ELNS1_3repE0EEENS1_30default_config_static_selectorELNS0_4arch9wavefront6targetE1EEEvT1_, .Lfunc_end16-_ZN7rocprim17ROCPRIM_400000_NS6detail17trampoline_kernelINS0_14default_configENS1_27scan_by_key_config_selectorImiEEZZNS1_16scan_by_key_implILNS1_25lookback_scan_determinismE0ELb0ES3_N6thrust23THRUST_200600_302600_NS18transform_iteratorI9row_indexNS9_17counting_iteratorImNS9_11use_defaultESD_SD_EESD_SD_EENS9_6detail15normal_iteratorINS9_10device_ptrIiEEEESK_iNS9_4plusIvEENS9_8equal_toIvEEiEE10hipError_tPvRmT2_T3_T4_T5_mT6_T7_P12ihipStream_tbENKUlT_T0_E_clISt17integral_constantIbLb1EES15_EEDaS10_S11_EUlS10_E_NS1_11comp_targetILNS1_3genE5ELNS1_11target_archE942ELNS1_3gpuE9ELNS1_3repE0EEENS1_30default_config_static_selectorELNS0_4arch9wavefront6targetE1EEEvT1_
                                        ; -- End function
	.set _ZN7rocprim17ROCPRIM_400000_NS6detail17trampoline_kernelINS0_14default_configENS1_27scan_by_key_config_selectorImiEEZZNS1_16scan_by_key_implILNS1_25lookback_scan_determinismE0ELb0ES3_N6thrust23THRUST_200600_302600_NS18transform_iteratorI9row_indexNS9_17counting_iteratorImNS9_11use_defaultESD_SD_EESD_SD_EENS9_6detail15normal_iteratorINS9_10device_ptrIiEEEESK_iNS9_4plusIvEENS9_8equal_toIvEEiEE10hipError_tPvRmT2_T3_T4_T5_mT6_T7_P12ihipStream_tbENKUlT_T0_E_clISt17integral_constantIbLb1EES15_EEDaS10_S11_EUlS10_E_NS1_11comp_targetILNS1_3genE5ELNS1_11target_archE942ELNS1_3gpuE9ELNS1_3repE0EEENS1_30default_config_static_selectorELNS0_4arch9wavefront6targetE1EEEvT1_.num_vgpr, 0
	.set _ZN7rocprim17ROCPRIM_400000_NS6detail17trampoline_kernelINS0_14default_configENS1_27scan_by_key_config_selectorImiEEZZNS1_16scan_by_key_implILNS1_25lookback_scan_determinismE0ELb0ES3_N6thrust23THRUST_200600_302600_NS18transform_iteratorI9row_indexNS9_17counting_iteratorImNS9_11use_defaultESD_SD_EESD_SD_EENS9_6detail15normal_iteratorINS9_10device_ptrIiEEEESK_iNS9_4plusIvEENS9_8equal_toIvEEiEE10hipError_tPvRmT2_T3_T4_T5_mT6_T7_P12ihipStream_tbENKUlT_T0_E_clISt17integral_constantIbLb1EES15_EEDaS10_S11_EUlS10_E_NS1_11comp_targetILNS1_3genE5ELNS1_11target_archE942ELNS1_3gpuE9ELNS1_3repE0EEENS1_30default_config_static_selectorELNS0_4arch9wavefront6targetE1EEEvT1_.num_agpr, 0
	.set _ZN7rocprim17ROCPRIM_400000_NS6detail17trampoline_kernelINS0_14default_configENS1_27scan_by_key_config_selectorImiEEZZNS1_16scan_by_key_implILNS1_25lookback_scan_determinismE0ELb0ES3_N6thrust23THRUST_200600_302600_NS18transform_iteratorI9row_indexNS9_17counting_iteratorImNS9_11use_defaultESD_SD_EESD_SD_EENS9_6detail15normal_iteratorINS9_10device_ptrIiEEEESK_iNS9_4plusIvEENS9_8equal_toIvEEiEE10hipError_tPvRmT2_T3_T4_T5_mT6_T7_P12ihipStream_tbENKUlT_T0_E_clISt17integral_constantIbLb1EES15_EEDaS10_S11_EUlS10_E_NS1_11comp_targetILNS1_3genE5ELNS1_11target_archE942ELNS1_3gpuE9ELNS1_3repE0EEENS1_30default_config_static_selectorELNS0_4arch9wavefront6targetE1EEEvT1_.numbered_sgpr, 0
	.set _ZN7rocprim17ROCPRIM_400000_NS6detail17trampoline_kernelINS0_14default_configENS1_27scan_by_key_config_selectorImiEEZZNS1_16scan_by_key_implILNS1_25lookback_scan_determinismE0ELb0ES3_N6thrust23THRUST_200600_302600_NS18transform_iteratorI9row_indexNS9_17counting_iteratorImNS9_11use_defaultESD_SD_EESD_SD_EENS9_6detail15normal_iteratorINS9_10device_ptrIiEEEESK_iNS9_4plusIvEENS9_8equal_toIvEEiEE10hipError_tPvRmT2_T3_T4_T5_mT6_T7_P12ihipStream_tbENKUlT_T0_E_clISt17integral_constantIbLb1EES15_EEDaS10_S11_EUlS10_E_NS1_11comp_targetILNS1_3genE5ELNS1_11target_archE942ELNS1_3gpuE9ELNS1_3repE0EEENS1_30default_config_static_selectorELNS0_4arch9wavefront6targetE1EEEvT1_.num_named_barrier, 0
	.set _ZN7rocprim17ROCPRIM_400000_NS6detail17trampoline_kernelINS0_14default_configENS1_27scan_by_key_config_selectorImiEEZZNS1_16scan_by_key_implILNS1_25lookback_scan_determinismE0ELb0ES3_N6thrust23THRUST_200600_302600_NS18transform_iteratorI9row_indexNS9_17counting_iteratorImNS9_11use_defaultESD_SD_EESD_SD_EENS9_6detail15normal_iteratorINS9_10device_ptrIiEEEESK_iNS9_4plusIvEENS9_8equal_toIvEEiEE10hipError_tPvRmT2_T3_T4_T5_mT6_T7_P12ihipStream_tbENKUlT_T0_E_clISt17integral_constantIbLb1EES15_EEDaS10_S11_EUlS10_E_NS1_11comp_targetILNS1_3genE5ELNS1_11target_archE942ELNS1_3gpuE9ELNS1_3repE0EEENS1_30default_config_static_selectorELNS0_4arch9wavefront6targetE1EEEvT1_.private_seg_size, 0
	.set _ZN7rocprim17ROCPRIM_400000_NS6detail17trampoline_kernelINS0_14default_configENS1_27scan_by_key_config_selectorImiEEZZNS1_16scan_by_key_implILNS1_25lookback_scan_determinismE0ELb0ES3_N6thrust23THRUST_200600_302600_NS18transform_iteratorI9row_indexNS9_17counting_iteratorImNS9_11use_defaultESD_SD_EESD_SD_EENS9_6detail15normal_iteratorINS9_10device_ptrIiEEEESK_iNS9_4plusIvEENS9_8equal_toIvEEiEE10hipError_tPvRmT2_T3_T4_T5_mT6_T7_P12ihipStream_tbENKUlT_T0_E_clISt17integral_constantIbLb1EES15_EEDaS10_S11_EUlS10_E_NS1_11comp_targetILNS1_3genE5ELNS1_11target_archE942ELNS1_3gpuE9ELNS1_3repE0EEENS1_30default_config_static_selectorELNS0_4arch9wavefront6targetE1EEEvT1_.uses_vcc, 0
	.set _ZN7rocprim17ROCPRIM_400000_NS6detail17trampoline_kernelINS0_14default_configENS1_27scan_by_key_config_selectorImiEEZZNS1_16scan_by_key_implILNS1_25lookback_scan_determinismE0ELb0ES3_N6thrust23THRUST_200600_302600_NS18transform_iteratorI9row_indexNS9_17counting_iteratorImNS9_11use_defaultESD_SD_EESD_SD_EENS9_6detail15normal_iteratorINS9_10device_ptrIiEEEESK_iNS9_4plusIvEENS9_8equal_toIvEEiEE10hipError_tPvRmT2_T3_T4_T5_mT6_T7_P12ihipStream_tbENKUlT_T0_E_clISt17integral_constantIbLb1EES15_EEDaS10_S11_EUlS10_E_NS1_11comp_targetILNS1_3genE5ELNS1_11target_archE942ELNS1_3gpuE9ELNS1_3repE0EEENS1_30default_config_static_selectorELNS0_4arch9wavefront6targetE1EEEvT1_.uses_flat_scratch, 0
	.set _ZN7rocprim17ROCPRIM_400000_NS6detail17trampoline_kernelINS0_14default_configENS1_27scan_by_key_config_selectorImiEEZZNS1_16scan_by_key_implILNS1_25lookback_scan_determinismE0ELb0ES3_N6thrust23THRUST_200600_302600_NS18transform_iteratorI9row_indexNS9_17counting_iteratorImNS9_11use_defaultESD_SD_EESD_SD_EENS9_6detail15normal_iteratorINS9_10device_ptrIiEEEESK_iNS9_4plusIvEENS9_8equal_toIvEEiEE10hipError_tPvRmT2_T3_T4_T5_mT6_T7_P12ihipStream_tbENKUlT_T0_E_clISt17integral_constantIbLb1EES15_EEDaS10_S11_EUlS10_E_NS1_11comp_targetILNS1_3genE5ELNS1_11target_archE942ELNS1_3gpuE9ELNS1_3repE0EEENS1_30default_config_static_selectorELNS0_4arch9wavefront6targetE1EEEvT1_.has_dyn_sized_stack, 0
	.set _ZN7rocprim17ROCPRIM_400000_NS6detail17trampoline_kernelINS0_14default_configENS1_27scan_by_key_config_selectorImiEEZZNS1_16scan_by_key_implILNS1_25lookback_scan_determinismE0ELb0ES3_N6thrust23THRUST_200600_302600_NS18transform_iteratorI9row_indexNS9_17counting_iteratorImNS9_11use_defaultESD_SD_EESD_SD_EENS9_6detail15normal_iteratorINS9_10device_ptrIiEEEESK_iNS9_4plusIvEENS9_8equal_toIvEEiEE10hipError_tPvRmT2_T3_T4_T5_mT6_T7_P12ihipStream_tbENKUlT_T0_E_clISt17integral_constantIbLb1EES15_EEDaS10_S11_EUlS10_E_NS1_11comp_targetILNS1_3genE5ELNS1_11target_archE942ELNS1_3gpuE9ELNS1_3repE0EEENS1_30default_config_static_selectorELNS0_4arch9wavefront6targetE1EEEvT1_.has_recursion, 0
	.set _ZN7rocprim17ROCPRIM_400000_NS6detail17trampoline_kernelINS0_14default_configENS1_27scan_by_key_config_selectorImiEEZZNS1_16scan_by_key_implILNS1_25lookback_scan_determinismE0ELb0ES3_N6thrust23THRUST_200600_302600_NS18transform_iteratorI9row_indexNS9_17counting_iteratorImNS9_11use_defaultESD_SD_EESD_SD_EENS9_6detail15normal_iteratorINS9_10device_ptrIiEEEESK_iNS9_4plusIvEENS9_8equal_toIvEEiEE10hipError_tPvRmT2_T3_T4_T5_mT6_T7_P12ihipStream_tbENKUlT_T0_E_clISt17integral_constantIbLb1EES15_EEDaS10_S11_EUlS10_E_NS1_11comp_targetILNS1_3genE5ELNS1_11target_archE942ELNS1_3gpuE9ELNS1_3repE0EEENS1_30default_config_static_selectorELNS0_4arch9wavefront6targetE1EEEvT1_.has_indirect_call, 0
	.section	.AMDGPU.csdata,"",@progbits
; Kernel info:
; codeLenInByte = 0
; TotalNumSgprs: 4
; NumVgprs: 0
; ScratchSize: 0
; MemoryBound: 0
; FloatMode: 240
; IeeeMode: 1
; LDSByteSize: 0 bytes/workgroup (compile time only)
; SGPRBlocks: 0
; VGPRBlocks: 0
; NumSGPRsForWavesPerEU: 4
; NumVGPRsForWavesPerEU: 1
; Occupancy: 10
; WaveLimiterHint : 0
; COMPUTE_PGM_RSRC2:SCRATCH_EN: 0
; COMPUTE_PGM_RSRC2:USER_SGPR: 6
; COMPUTE_PGM_RSRC2:TRAP_HANDLER: 0
; COMPUTE_PGM_RSRC2:TGID_X_EN: 1
; COMPUTE_PGM_RSRC2:TGID_Y_EN: 0
; COMPUTE_PGM_RSRC2:TGID_Z_EN: 0
; COMPUTE_PGM_RSRC2:TIDIG_COMP_CNT: 0
	.section	.text._ZN7rocprim17ROCPRIM_400000_NS6detail17trampoline_kernelINS0_14default_configENS1_27scan_by_key_config_selectorImiEEZZNS1_16scan_by_key_implILNS1_25lookback_scan_determinismE0ELb0ES3_N6thrust23THRUST_200600_302600_NS18transform_iteratorI9row_indexNS9_17counting_iteratorImNS9_11use_defaultESD_SD_EESD_SD_EENS9_6detail15normal_iteratorINS9_10device_ptrIiEEEESK_iNS9_4plusIvEENS9_8equal_toIvEEiEE10hipError_tPvRmT2_T3_T4_T5_mT6_T7_P12ihipStream_tbENKUlT_T0_E_clISt17integral_constantIbLb1EES15_EEDaS10_S11_EUlS10_E_NS1_11comp_targetILNS1_3genE4ELNS1_11target_archE910ELNS1_3gpuE8ELNS1_3repE0EEENS1_30default_config_static_selectorELNS0_4arch9wavefront6targetE1EEEvT1_,"axG",@progbits,_ZN7rocprim17ROCPRIM_400000_NS6detail17trampoline_kernelINS0_14default_configENS1_27scan_by_key_config_selectorImiEEZZNS1_16scan_by_key_implILNS1_25lookback_scan_determinismE0ELb0ES3_N6thrust23THRUST_200600_302600_NS18transform_iteratorI9row_indexNS9_17counting_iteratorImNS9_11use_defaultESD_SD_EESD_SD_EENS9_6detail15normal_iteratorINS9_10device_ptrIiEEEESK_iNS9_4plusIvEENS9_8equal_toIvEEiEE10hipError_tPvRmT2_T3_T4_T5_mT6_T7_P12ihipStream_tbENKUlT_T0_E_clISt17integral_constantIbLb1EES15_EEDaS10_S11_EUlS10_E_NS1_11comp_targetILNS1_3genE4ELNS1_11target_archE910ELNS1_3gpuE8ELNS1_3repE0EEENS1_30default_config_static_selectorELNS0_4arch9wavefront6targetE1EEEvT1_,comdat
	.protected	_ZN7rocprim17ROCPRIM_400000_NS6detail17trampoline_kernelINS0_14default_configENS1_27scan_by_key_config_selectorImiEEZZNS1_16scan_by_key_implILNS1_25lookback_scan_determinismE0ELb0ES3_N6thrust23THRUST_200600_302600_NS18transform_iteratorI9row_indexNS9_17counting_iteratorImNS9_11use_defaultESD_SD_EESD_SD_EENS9_6detail15normal_iteratorINS9_10device_ptrIiEEEESK_iNS9_4plusIvEENS9_8equal_toIvEEiEE10hipError_tPvRmT2_T3_T4_T5_mT6_T7_P12ihipStream_tbENKUlT_T0_E_clISt17integral_constantIbLb1EES15_EEDaS10_S11_EUlS10_E_NS1_11comp_targetILNS1_3genE4ELNS1_11target_archE910ELNS1_3gpuE8ELNS1_3repE0EEENS1_30default_config_static_selectorELNS0_4arch9wavefront6targetE1EEEvT1_ ; -- Begin function _ZN7rocprim17ROCPRIM_400000_NS6detail17trampoline_kernelINS0_14default_configENS1_27scan_by_key_config_selectorImiEEZZNS1_16scan_by_key_implILNS1_25lookback_scan_determinismE0ELb0ES3_N6thrust23THRUST_200600_302600_NS18transform_iteratorI9row_indexNS9_17counting_iteratorImNS9_11use_defaultESD_SD_EESD_SD_EENS9_6detail15normal_iteratorINS9_10device_ptrIiEEEESK_iNS9_4plusIvEENS9_8equal_toIvEEiEE10hipError_tPvRmT2_T3_T4_T5_mT6_T7_P12ihipStream_tbENKUlT_T0_E_clISt17integral_constantIbLb1EES15_EEDaS10_S11_EUlS10_E_NS1_11comp_targetILNS1_3genE4ELNS1_11target_archE910ELNS1_3gpuE8ELNS1_3repE0EEENS1_30default_config_static_selectorELNS0_4arch9wavefront6targetE1EEEvT1_
	.globl	_ZN7rocprim17ROCPRIM_400000_NS6detail17trampoline_kernelINS0_14default_configENS1_27scan_by_key_config_selectorImiEEZZNS1_16scan_by_key_implILNS1_25lookback_scan_determinismE0ELb0ES3_N6thrust23THRUST_200600_302600_NS18transform_iteratorI9row_indexNS9_17counting_iteratorImNS9_11use_defaultESD_SD_EESD_SD_EENS9_6detail15normal_iteratorINS9_10device_ptrIiEEEESK_iNS9_4plusIvEENS9_8equal_toIvEEiEE10hipError_tPvRmT2_T3_T4_T5_mT6_T7_P12ihipStream_tbENKUlT_T0_E_clISt17integral_constantIbLb1EES15_EEDaS10_S11_EUlS10_E_NS1_11comp_targetILNS1_3genE4ELNS1_11target_archE910ELNS1_3gpuE8ELNS1_3repE0EEENS1_30default_config_static_selectorELNS0_4arch9wavefront6targetE1EEEvT1_
	.p2align	8
	.type	_ZN7rocprim17ROCPRIM_400000_NS6detail17trampoline_kernelINS0_14default_configENS1_27scan_by_key_config_selectorImiEEZZNS1_16scan_by_key_implILNS1_25lookback_scan_determinismE0ELb0ES3_N6thrust23THRUST_200600_302600_NS18transform_iteratorI9row_indexNS9_17counting_iteratorImNS9_11use_defaultESD_SD_EESD_SD_EENS9_6detail15normal_iteratorINS9_10device_ptrIiEEEESK_iNS9_4plusIvEENS9_8equal_toIvEEiEE10hipError_tPvRmT2_T3_T4_T5_mT6_T7_P12ihipStream_tbENKUlT_T0_E_clISt17integral_constantIbLb1EES15_EEDaS10_S11_EUlS10_E_NS1_11comp_targetILNS1_3genE4ELNS1_11target_archE910ELNS1_3gpuE8ELNS1_3repE0EEENS1_30default_config_static_selectorELNS0_4arch9wavefront6targetE1EEEvT1_,@function
_ZN7rocprim17ROCPRIM_400000_NS6detail17trampoline_kernelINS0_14default_configENS1_27scan_by_key_config_selectorImiEEZZNS1_16scan_by_key_implILNS1_25lookback_scan_determinismE0ELb0ES3_N6thrust23THRUST_200600_302600_NS18transform_iteratorI9row_indexNS9_17counting_iteratorImNS9_11use_defaultESD_SD_EESD_SD_EENS9_6detail15normal_iteratorINS9_10device_ptrIiEEEESK_iNS9_4plusIvEENS9_8equal_toIvEEiEE10hipError_tPvRmT2_T3_T4_T5_mT6_T7_P12ihipStream_tbENKUlT_T0_E_clISt17integral_constantIbLb1EES15_EEDaS10_S11_EUlS10_E_NS1_11comp_targetILNS1_3genE4ELNS1_11target_archE910ELNS1_3gpuE8ELNS1_3repE0EEENS1_30default_config_static_selectorELNS0_4arch9wavefront6targetE1EEEvT1_: ; @_ZN7rocprim17ROCPRIM_400000_NS6detail17trampoline_kernelINS0_14default_configENS1_27scan_by_key_config_selectorImiEEZZNS1_16scan_by_key_implILNS1_25lookback_scan_determinismE0ELb0ES3_N6thrust23THRUST_200600_302600_NS18transform_iteratorI9row_indexNS9_17counting_iteratorImNS9_11use_defaultESD_SD_EESD_SD_EENS9_6detail15normal_iteratorINS9_10device_ptrIiEEEESK_iNS9_4plusIvEENS9_8equal_toIvEEiEE10hipError_tPvRmT2_T3_T4_T5_mT6_T7_P12ihipStream_tbENKUlT_T0_E_clISt17integral_constantIbLb1EES15_EEDaS10_S11_EUlS10_E_NS1_11comp_targetILNS1_3genE4ELNS1_11target_archE910ELNS1_3gpuE8ELNS1_3repE0EEENS1_30default_config_static_selectorELNS0_4arch9wavefront6targetE1EEEvT1_
; %bb.0:
	.section	.rodata,"a",@progbits
	.p2align	6, 0x0
	.amdhsa_kernel _ZN7rocprim17ROCPRIM_400000_NS6detail17trampoline_kernelINS0_14default_configENS1_27scan_by_key_config_selectorImiEEZZNS1_16scan_by_key_implILNS1_25lookback_scan_determinismE0ELb0ES3_N6thrust23THRUST_200600_302600_NS18transform_iteratorI9row_indexNS9_17counting_iteratorImNS9_11use_defaultESD_SD_EESD_SD_EENS9_6detail15normal_iteratorINS9_10device_ptrIiEEEESK_iNS9_4plusIvEENS9_8equal_toIvEEiEE10hipError_tPvRmT2_T3_T4_T5_mT6_T7_P12ihipStream_tbENKUlT_T0_E_clISt17integral_constantIbLb1EES15_EEDaS10_S11_EUlS10_E_NS1_11comp_targetILNS1_3genE4ELNS1_11target_archE910ELNS1_3gpuE8ELNS1_3repE0EEENS1_30default_config_static_selectorELNS0_4arch9wavefront6targetE1EEEvT1_
		.amdhsa_group_segment_fixed_size 0
		.amdhsa_private_segment_fixed_size 0
		.amdhsa_kernarg_size 120
		.amdhsa_user_sgpr_count 6
		.amdhsa_user_sgpr_private_segment_buffer 1
		.amdhsa_user_sgpr_dispatch_ptr 0
		.amdhsa_user_sgpr_queue_ptr 0
		.amdhsa_user_sgpr_kernarg_segment_ptr 1
		.amdhsa_user_sgpr_dispatch_id 0
		.amdhsa_user_sgpr_flat_scratch_init 0
		.amdhsa_user_sgpr_private_segment_size 0
		.amdhsa_uses_dynamic_stack 0
		.amdhsa_system_sgpr_private_segment_wavefront_offset 0
		.amdhsa_system_sgpr_workgroup_id_x 1
		.amdhsa_system_sgpr_workgroup_id_y 0
		.amdhsa_system_sgpr_workgroup_id_z 0
		.amdhsa_system_sgpr_workgroup_info 0
		.amdhsa_system_vgpr_workitem_id 0
		.amdhsa_next_free_vgpr 1
		.amdhsa_next_free_sgpr 0
		.amdhsa_reserve_vcc 0
		.amdhsa_reserve_flat_scratch 0
		.amdhsa_float_round_mode_32 0
		.amdhsa_float_round_mode_16_64 0
		.amdhsa_float_denorm_mode_32 3
		.amdhsa_float_denorm_mode_16_64 3
		.amdhsa_dx10_clamp 1
		.amdhsa_ieee_mode 1
		.amdhsa_fp16_overflow 0
		.amdhsa_exception_fp_ieee_invalid_op 0
		.amdhsa_exception_fp_denorm_src 0
		.amdhsa_exception_fp_ieee_div_zero 0
		.amdhsa_exception_fp_ieee_overflow 0
		.amdhsa_exception_fp_ieee_underflow 0
		.amdhsa_exception_fp_ieee_inexact 0
		.amdhsa_exception_int_div_zero 0
	.end_amdhsa_kernel
	.section	.text._ZN7rocprim17ROCPRIM_400000_NS6detail17trampoline_kernelINS0_14default_configENS1_27scan_by_key_config_selectorImiEEZZNS1_16scan_by_key_implILNS1_25lookback_scan_determinismE0ELb0ES3_N6thrust23THRUST_200600_302600_NS18transform_iteratorI9row_indexNS9_17counting_iteratorImNS9_11use_defaultESD_SD_EESD_SD_EENS9_6detail15normal_iteratorINS9_10device_ptrIiEEEESK_iNS9_4plusIvEENS9_8equal_toIvEEiEE10hipError_tPvRmT2_T3_T4_T5_mT6_T7_P12ihipStream_tbENKUlT_T0_E_clISt17integral_constantIbLb1EES15_EEDaS10_S11_EUlS10_E_NS1_11comp_targetILNS1_3genE4ELNS1_11target_archE910ELNS1_3gpuE8ELNS1_3repE0EEENS1_30default_config_static_selectorELNS0_4arch9wavefront6targetE1EEEvT1_,"axG",@progbits,_ZN7rocprim17ROCPRIM_400000_NS6detail17trampoline_kernelINS0_14default_configENS1_27scan_by_key_config_selectorImiEEZZNS1_16scan_by_key_implILNS1_25lookback_scan_determinismE0ELb0ES3_N6thrust23THRUST_200600_302600_NS18transform_iteratorI9row_indexNS9_17counting_iteratorImNS9_11use_defaultESD_SD_EESD_SD_EENS9_6detail15normal_iteratorINS9_10device_ptrIiEEEESK_iNS9_4plusIvEENS9_8equal_toIvEEiEE10hipError_tPvRmT2_T3_T4_T5_mT6_T7_P12ihipStream_tbENKUlT_T0_E_clISt17integral_constantIbLb1EES15_EEDaS10_S11_EUlS10_E_NS1_11comp_targetILNS1_3genE4ELNS1_11target_archE910ELNS1_3gpuE8ELNS1_3repE0EEENS1_30default_config_static_selectorELNS0_4arch9wavefront6targetE1EEEvT1_,comdat
.Lfunc_end17:
	.size	_ZN7rocprim17ROCPRIM_400000_NS6detail17trampoline_kernelINS0_14default_configENS1_27scan_by_key_config_selectorImiEEZZNS1_16scan_by_key_implILNS1_25lookback_scan_determinismE0ELb0ES3_N6thrust23THRUST_200600_302600_NS18transform_iteratorI9row_indexNS9_17counting_iteratorImNS9_11use_defaultESD_SD_EESD_SD_EENS9_6detail15normal_iteratorINS9_10device_ptrIiEEEESK_iNS9_4plusIvEENS9_8equal_toIvEEiEE10hipError_tPvRmT2_T3_T4_T5_mT6_T7_P12ihipStream_tbENKUlT_T0_E_clISt17integral_constantIbLb1EES15_EEDaS10_S11_EUlS10_E_NS1_11comp_targetILNS1_3genE4ELNS1_11target_archE910ELNS1_3gpuE8ELNS1_3repE0EEENS1_30default_config_static_selectorELNS0_4arch9wavefront6targetE1EEEvT1_, .Lfunc_end17-_ZN7rocprim17ROCPRIM_400000_NS6detail17trampoline_kernelINS0_14default_configENS1_27scan_by_key_config_selectorImiEEZZNS1_16scan_by_key_implILNS1_25lookback_scan_determinismE0ELb0ES3_N6thrust23THRUST_200600_302600_NS18transform_iteratorI9row_indexNS9_17counting_iteratorImNS9_11use_defaultESD_SD_EESD_SD_EENS9_6detail15normal_iteratorINS9_10device_ptrIiEEEESK_iNS9_4plusIvEENS9_8equal_toIvEEiEE10hipError_tPvRmT2_T3_T4_T5_mT6_T7_P12ihipStream_tbENKUlT_T0_E_clISt17integral_constantIbLb1EES15_EEDaS10_S11_EUlS10_E_NS1_11comp_targetILNS1_3genE4ELNS1_11target_archE910ELNS1_3gpuE8ELNS1_3repE0EEENS1_30default_config_static_selectorELNS0_4arch9wavefront6targetE1EEEvT1_
                                        ; -- End function
	.set _ZN7rocprim17ROCPRIM_400000_NS6detail17trampoline_kernelINS0_14default_configENS1_27scan_by_key_config_selectorImiEEZZNS1_16scan_by_key_implILNS1_25lookback_scan_determinismE0ELb0ES3_N6thrust23THRUST_200600_302600_NS18transform_iteratorI9row_indexNS9_17counting_iteratorImNS9_11use_defaultESD_SD_EESD_SD_EENS9_6detail15normal_iteratorINS9_10device_ptrIiEEEESK_iNS9_4plusIvEENS9_8equal_toIvEEiEE10hipError_tPvRmT2_T3_T4_T5_mT6_T7_P12ihipStream_tbENKUlT_T0_E_clISt17integral_constantIbLb1EES15_EEDaS10_S11_EUlS10_E_NS1_11comp_targetILNS1_3genE4ELNS1_11target_archE910ELNS1_3gpuE8ELNS1_3repE0EEENS1_30default_config_static_selectorELNS0_4arch9wavefront6targetE1EEEvT1_.num_vgpr, 0
	.set _ZN7rocprim17ROCPRIM_400000_NS6detail17trampoline_kernelINS0_14default_configENS1_27scan_by_key_config_selectorImiEEZZNS1_16scan_by_key_implILNS1_25lookback_scan_determinismE0ELb0ES3_N6thrust23THRUST_200600_302600_NS18transform_iteratorI9row_indexNS9_17counting_iteratorImNS9_11use_defaultESD_SD_EESD_SD_EENS9_6detail15normal_iteratorINS9_10device_ptrIiEEEESK_iNS9_4plusIvEENS9_8equal_toIvEEiEE10hipError_tPvRmT2_T3_T4_T5_mT6_T7_P12ihipStream_tbENKUlT_T0_E_clISt17integral_constantIbLb1EES15_EEDaS10_S11_EUlS10_E_NS1_11comp_targetILNS1_3genE4ELNS1_11target_archE910ELNS1_3gpuE8ELNS1_3repE0EEENS1_30default_config_static_selectorELNS0_4arch9wavefront6targetE1EEEvT1_.num_agpr, 0
	.set _ZN7rocprim17ROCPRIM_400000_NS6detail17trampoline_kernelINS0_14default_configENS1_27scan_by_key_config_selectorImiEEZZNS1_16scan_by_key_implILNS1_25lookback_scan_determinismE0ELb0ES3_N6thrust23THRUST_200600_302600_NS18transform_iteratorI9row_indexNS9_17counting_iteratorImNS9_11use_defaultESD_SD_EESD_SD_EENS9_6detail15normal_iteratorINS9_10device_ptrIiEEEESK_iNS9_4plusIvEENS9_8equal_toIvEEiEE10hipError_tPvRmT2_T3_T4_T5_mT6_T7_P12ihipStream_tbENKUlT_T0_E_clISt17integral_constantIbLb1EES15_EEDaS10_S11_EUlS10_E_NS1_11comp_targetILNS1_3genE4ELNS1_11target_archE910ELNS1_3gpuE8ELNS1_3repE0EEENS1_30default_config_static_selectorELNS0_4arch9wavefront6targetE1EEEvT1_.numbered_sgpr, 0
	.set _ZN7rocprim17ROCPRIM_400000_NS6detail17trampoline_kernelINS0_14default_configENS1_27scan_by_key_config_selectorImiEEZZNS1_16scan_by_key_implILNS1_25lookback_scan_determinismE0ELb0ES3_N6thrust23THRUST_200600_302600_NS18transform_iteratorI9row_indexNS9_17counting_iteratorImNS9_11use_defaultESD_SD_EESD_SD_EENS9_6detail15normal_iteratorINS9_10device_ptrIiEEEESK_iNS9_4plusIvEENS9_8equal_toIvEEiEE10hipError_tPvRmT2_T3_T4_T5_mT6_T7_P12ihipStream_tbENKUlT_T0_E_clISt17integral_constantIbLb1EES15_EEDaS10_S11_EUlS10_E_NS1_11comp_targetILNS1_3genE4ELNS1_11target_archE910ELNS1_3gpuE8ELNS1_3repE0EEENS1_30default_config_static_selectorELNS0_4arch9wavefront6targetE1EEEvT1_.num_named_barrier, 0
	.set _ZN7rocprim17ROCPRIM_400000_NS6detail17trampoline_kernelINS0_14default_configENS1_27scan_by_key_config_selectorImiEEZZNS1_16scan_by_key_implILNS1_25lookback_scan_determinismE0ELb0ES3_N6thrust23THRUST_200600_302600_NS18transform_iteratorI9row_indexNS9_17counting_iteratorImNS9_11use_defaultESD_SD_EESD_SD_EENS9_6detail15normal_iteratorINS9_10device_ptrIiEEEESK_iNS9_4plusIvEENS9_8equal_toIvEEiEE10hipError_tPvRmT2_T3_T4_T5_mT6_T7_P12ihipStream_tbENKUlT_T0_E_clISt17integral_constantIbLb1EES15_EEDaS10_S11_EUlS10_E_NS1_11comp_targetILNS1_3genE4ELNS1_11target_archE910ELNS1_3gpuE8ELNS1_3repE0EEENS1_30default_config_static_selectorELNS0_4arch9wavefront6targetE1EEEvT1_.private_seg_size, 0
	.set _ZN7rocprim17ROCPRIM_400000_NS6detail17trampoline_kernelINS0_14default_configENS1_27scan_by_key_config_selectorImiEEZZNS1_16scan_by_key_implILNS1_25lookback_scan_determinismE0ELb0ES3_N6thrust23THRUST_200600_302600_NS18transform_iteratorI9row_indexNS9_17counting_iteratorImNS9_11use_defaultESD_SD_EESD_SD_EENS9_6detail15normal_iteratorINS9_10device_ptrIiEEEESK_iNS9_4plusIvEENS9_8equal_toIvEEiEE10hipError_tPvRmT2_T3_T4_T5_mT6_T7_P12ihipStream_tbENKUlT_T0_E_clISt17integral_constantIbLb1EES15_EEDaS10_S11_EUlS10_E_NS1_11comp_targetILNS1_3genE4ELNS1_11target_archE910ELNS1_3gpuE8ELNS1_3repE0EEENS1_30default_config_static_selectorELNS0_4arch9wavefront6targetE1EEEvT1_.uses_vcc, 0
	.set _ZN7rocprim17ROCPRIM_400000_NS6detail17trampoline_kernelINS0_14default_configENS1_27scan_by_key_config_selectorImiEEZZNS1_16scan_by_key_implILNS1_25lookback_scan_determinismE0ELb0ES3_N6thrust23THRUST_200600_302600_NS18transform_iteratorI9row_indexNS9_17counting_iteratorImNS9_11use_defaultESD_SD_EESD_SD_EENS9_6detail15normal_iteratorINS9_10device_ptrIiEEEESK_iNS9_4plusIvEENS9_8equal_toIvEEiEE10hipError_tPvRmT2_T3_T4_T5_mT6_T7_P12ihipStream_tbENKUlT_T0_E_clISt17integral_constantIbLb1EES15_EEDaS10_S11_EUlS10_E_NS1_11comp_targetILNS1_3genE4ELNS1_11target_archE910ELNS1_3gpuE8ELNS1_3repE0EEENS1_30default_config_static_selectorELNS0_4arch9wavefront6targetE1EEEvT1_.uses_flat_scratch, 0
	.set _ZN7rocprim17ROCPRIM_400000_NS6detail17trampoline_kernelINS0_14default_configENS1_27scan_by_key_config_selectorImiEEZZNS1_16scan_by_key_implILNS1_25lookback_scan_determinismE0ELb0ES3_N6thrust23THRUST_200600_302600_NS18transform_iteratorI9row_indexNS9_17counting_iteratorImNS9_11use_defaultESD_SD_EESD_SD_EENS9_6detail15normal_iteratorINS9_10device_ptrIiEEEESK_iNS9_4plusIvEENS9_8equal_toIvEEiEE10hipError_tPvRmT2_T3_T4_T5_mT6_T7_P12ihipStream_tbENKUlT_T0_E_clISt17integral_constantIbLb1EES15_EEDaS10_S11_EUlS10_E_NS1_11comp_targetILNS1_3genE4ELNS1_11target_archE910ELNS1_3gpuE8ELNS1_3repE0EEENS1_30default_config_static_selectorELNS0_4arch9wavefront6targetE1EEEvT1_.has_dyn_sized_stack, 0
	.set _ZN7rocprim17ROCPRIM_400000_NS6detail17trampoline_kernelINS0_14default_configENS1_27scan_by_key_config_selectorImiEEZZNS1_16scan_by_key_implILNS1_25lookback_scan_determinismE0ELb0ES3_N6thrust23THRUST_200600_302600_NS18transform_iteratorI9row_indexNS9_17counting_iteratorImNS9_11use_defaultESD_SD_EESD_SD_EENS9_6detail15normal_iteratorINS9_10device_ptrIiEEEESK_iNS9_4plusIvEENS9_8equal_toIvEEiEE10hipError_tPvRmT2_T3_T4_T5_mT6_T7_P12ihipStream_tbENKUlT_T0_E_clISt17integral_constantIbLb1EES15_EEDaS10_S11_EUlS10_E_NS1_11comp_targetILNS1_3genE4ELNS1_11target_archE910ELNS1_3gpuE8ELNS1_3repE0EEENS1_30default_config_static_selectorELNS0_4arch9wavefront6targetE1EEEvT1_.has_recursion, 0
	.set _ZN7rocprim17ROCPRIM_400000_NS6detail17trampoline_kernelINS0_14default_configENS1_27scan_by_key_config_selectorImiEEZZNS1_16scan_by_key_implILNS1_25lookback_scan_determinismE0ELb0ES3_N6thrust23THRUST_200600_302600_NS18transform_iteratorI9row_indexNS9_17counting_iteratorImNS9_11use_defaultESD_SD_EESD_SD_EENS9_6detail15normal_iteratorINS9_10device_ptrIiEEEESK_iNS9_4plusIvEENS9_8equal_toIvEEiEE10hipError_tPvRmT2_T3_T4_T5_mT6_T7_P12ihipStream_tbENKUlT_T0_E_clISt17integral_constantIbLb1EES15_EEDaS10_S11_EUlS10_E_NS1_11comp_targetILNS1_3genE4ELNS1_11target_archE910ELNS1_3gpuE8ELNS1_3repE0EEENS1_30default_config_static_selectorELNS0_4arch9wavefront6targetE1EEEvT1_.has_indirect_call, 0
	.section	.AMDGPU.csdata,"",@progbits
; Kernel info:
; codeLenInByte = 0
; TotalNumSgprs: 4
; NumVgprs: 0
; ScratchSize: 0
; MemoryBound: 0
; FloatMode: 240
; IeeeMode: 1
; LDSByteSize: 0 bytes/workgroup (compile time only)
; SGPRBlocks: 0
; VGPRBlocks: 0
; NumSGPRsForWavesPerEU: 4
; NumVGPRsForWavesPerEU: 1
; Occupancy: 10
; WaveLimiterHint : 0
; COMPUTE_PGM_RSRC2:SCRATCH_EN: 0
; COMPUTE_PGM_RSRC2:USER_SGPR: 6
; COMPUTE_PGM_RSRC2:TRAP_HANDLER: 0
; COMPUTE_PGM_RSRC2:TGID_X_EN: 1
; COMPUTE_PGM_RSRC2:TGID_Y_EN: 0
; COMPUTE_PGM_RSRC2:TGID_Z_EN: 0
; COMPUTE_PGM_RSRC2:TIDIG_COMP_CNT: 0
	.section	.text._ZN7rocprim17ROCPRIM_400000_NS6detail17trampoline_kernelINS0_14default_configENS1_27scan_by_key_config_selectorImiEEZZNS1_16scan_by_key_implILNS1_25lookback_scan_determinismE0ELb0ES3_N6thrust23THRUST_200600_302600_NS18transform_iteratorI9row_indexNS9_17counting_iteratorImNS9_11use_defaultESD_SD_EESD_SD_EENS9_6detail15normal_iteratorINS9_10device_ptrIiEEEESK_iNS9_4plusIvEENS9_8equal_toIvEEiEE10hipError_tPvRmT2_T3_T4_T5_mT6_T7_P12ihipStream_tbENKUlT_T0_E_clISt17integral_constantIbLb1EES15_EEDaS10_S11_EUlS10_E_NS1_11comp_targetILNS1_3genE3ELNS1_11target_archE908ELNS1_3gpuE7ELNS1_3repE0EEENS1_30default_config_static_selectorELNS0_4arch9wavefront6targetE1EEEvT1_,"axG",@progbits,_ZN7rocprim17ROCPRIM_400000_NS6detail17trampoline_kernelINS0_14default_configENS1_27scan_by_key_config_selectorImiEEZZNS1_16scan_by_key_implILNS1_25lookback_scan_determinismE0ELb0ES3_N6thrust23THRUST_200600_302600_NS18transform_iteratorI9row_indexNS9_17counting_iteratorImNS9_11use_defaultESD_SD_EESD_SD_EENS9_6detail15normal_iteratorINS9_10device_ptrIiEEEESK_iNS9_4plusIvEENS9_8equal_toIvEEiEE10hipError_tPvRmT2_T3_T4_T5_mT6_T7_P12ihipStream_tbENKUlT_T0_E_clISt17integral_constantIbLb1EES15_EEDaS10_S11_EUlS10_E_NS1_11comp_targetILNS1_3genE3ELNS1_11target_archE908ELNS1_3gpuE7ELNS1_3repE0EEENS1_30default_config_static_selectorELNS0_4arch9wavefront6targetE1EEEvT1_,comdat
	.protected	_ZN7rocprim17ROCPRIM_400000_NS6detail17trampoline_kernelINS0_14default_configENS1_27scan_by_key_config_selectorImiEEZZNS1_16scan_by_key_implILNS1_25lookback_scan_determinismE0ELb0ES3_N6thrust23THRUST_200600_302600_NS18transform_iteratorI9row_indexNS9_17counting_iteratorImNS9_11use_defaultESD_SD_EESD_SD_EENS9_6detail15normal_iteratorINS9_10device_ptrIiEEEESK_iNS9_4plusIvEENS9_8equal_toIvEEiEE10hipError_tPvRmT2_T3_T4_T5_mT6_T7_P12ihipStream_tbENKUlT_T0_E_clISt17integral_constantIbLb1EES15_EEDaS10_S11_EUlS10_E_NS1_11comp_targetILNS1_3genE3ELNS1_11target_archE908ELNS1_3gpuE7ELNS1_3repE0EEENS1_30default_config_static_selectorELNS0_4arch9wavefront6targetE1EEEvT1_ ; -- Begin function _ZN7rocprim17ROCPRIM_400000_NS6detail17trampoline_kernelINS0_14default_configENS1_27scan_by_key_config_selectorImiEEZZNS1_16scan_by_key_implILNS1_25lookback_scan_determinismE0ELb0ES3_N6thrust23THRUST_200600_302600_NS18transform_iteratorI9row_indexNS9_17counting_iteratorImNS9_11use_defaultESD_SD_EESD_SD_EENS9_6detail15normal_iteratorINS9_10device_ptrIiEEEESK_iNS9_4plusIvEENS9_8equal_toIvEEiEE10hipError_tPvRmT2_T3_T4_T5_mT6_T7_P12ihipStream_tbENKUlT_T0_E_clISt17integral_constantIbLb1EES15_EEDaS10_S11_EUlS10_E_NS1_11comp_targetILNS1_3genE3ELNS1_11target_archE908ELNS1_3gpuE7ELNS1_3repE0EEENS1_30default_config_static_selectorELNS0_4arch9wavefront6targetE1EEEvT1_
	.globl	_ZN7rocprim17ROCPRIM_400000_NS6detail17trampoline_kernelINS0_14default_configENS1_27scan_by_key_config_selectorImiEEZZNS1_16scan_by_key_implILNS1_25lookback_scan_determinismE0ELb0ES3_N6thrust23THRUST_200600_302600_NS18transform_iteratorI9row_indexNS9_17counting_iteratorImNS9_11use_defaultESD_SD_EESD_SD_EENS9_6detail15normal_iteratorINS9_10device_ptrIiEEEESK_iNS9_4plusIvEENS9_8equal_toIvEEiEE10hipError_tPvRmT2_T3_T4_T5_mT6_T7_P12ihipStream_tbENKUlT_T0_E_clISt17integral_constantIbLb1EES15_EEDaS10_S11_EUlS10_E_NS1_11comp_targetILNS1_3genE3ELNS1_11target_archE908ELNS1_3gpuE7ELNS1_3repE0EEENS1_30default_config_static_selectorELNS0_4arch9wavefront6targetE1EEEvT1_
	.p2align	8
	.type	_ZN7rocprim17ROCPRIM_400000_NS6detail17trampoline_kernelINS0_14default_configENS1_27scan_by_key_config_selectorImiEEZZNS1_16scan_by_key_implILNS1_25lookback_scan_determinismE0ELb0ES3_N6thrust23THRUST_200600_302600_NS18transform_iteratorI9row_indexNS9_17counting_iteratorImNS9_11use_defaultESD_SD_EESD_SD_EENS9_6detail15normal_iteratorINS9_10device_ptrIiEEEESK_iNS9_4plusIvEENS9_8equal_toIvEEiEE10hipError_tPvRmT2_T3_T4_T5_mT6_T7_P12ihipStream_tbENKUlT_T0_E_clISt17integral_constantIbLb1EES15_EEDaS10_S11_EUlS10_E_NS1_11comp_targetILNS1_3genE3ELNS1_11target_archE908ELNS1_3gpuE7ELNS1_3repE0EEENS1_30default_config_static_selectorELNS0_4arch9wavefront6targetE1EEEvT1_,@function
_ZN7rocprim17ROCPRIM_400000_NS6detail17trampoline_kernelINS0_14default_configENS1_27scan_by_key_config_selectorImiEEZZNS1_16scan_by_key_implILNS1_25lookback_scan_determinismE0ELb0ES3_N6thrust23THRUST_200600_302600_NS18transform_iteratorI9row_indexNS9_17counting_iteratorImNS9_11use_defaultESD_SD_EESD_SD_EENS9_6detail15normal_iteratorINS9_10device_ptrIiEEEESK_iNS9_4plusIvEENS9_8equal_toIvEEiEE10hipError_tPvRmT2_T3_T4_T5_mT6_T7_P12ihipStream_tbENKUlT_T0_E_clISt17integral_constantIbLb1EES15_EEDaS10_S11_EUlS10_E_NS1_11comp_targetILNS1_3genE3ELNS1_11target_archE908ELNS1_3gpuE7ELNS1_3repE0EEENS1_30default_config_static_selectorELNS0_4arch9wavefront6targetE1EEEvT1_: ; @_ZN7rocprim17ROCPRIM_400000_NS6detail17trampoline_kernelINS0_14default_configENS1_27scan_by_key_config_selectorImiEEZZNS1_16scan_by_key_implILNS1_25lookback_scan_determinismE0ELb0ES3_N6thrust23THRUST_200600_302600_NS18transform_iteratorI9row_indexNS9_17counting_iteratorImNS9_11use_defaultESD_SD_EESD_SD_EENS9_6detail15normal_iteratorINS9_10device_ptrIiEEEESK_iNS9_4plusIvEENS9_8equal_toIvEEiEE10hipError_tPvRmT2_T3_T4_T5_mT6_T7_P12ihipStream_tbENKUlT_T0_E_clISt17integral_constantIbLb1EES15_EEDaS10_S11_EUlS10_E_NS1_11comp_targetILNS1_3genE3ELNS1_11target_archE908ELNS1_3gpuE7ELNS1_3repE0EEENS1_30default_config_static_selectorELNS0_4arch9wavefront6targetE1EEEvT1_
; %bb.0:
	.section	.rodata,"a",@progbits
	.p2align	6, 0x0
	.amdhsa_kernel _ZN7rocprim17ROCPRIM_400000_NS6detail17trampoline_kernelINS0_14default_configENS1_27scan_by_key_config_selectorImiEEZZNS1_16scan_by_key_implILNS1_25lookback_scan_determinismE0ELb0ES3_N6thrust23THRUST_200600_302600_NS18transform_iteratorI9row_indexNS9_17counting_iteratorImNS9_11use_defaultESD_SD_EESD_SD_EENS9_6detail15normal_iteratorINS9_10device_ptrIiEEEESK_iNS9_4plusIvEENS9_8equal_toIvEEiEE10hipError_tPvRmT2_T3_T4_T5_mT6_T7_P12ihipStream_tbENKUlT_T0_E_clISt17integral_constantIbLb1EES15_EEDaS10_S11_EUlS10_E_NS1_11comp_targetILNS1_3genE3ELNS1_11target_archE908ELNS1_3gpuE7ELNS1_3repE0EEENS1_30default_config_static_selectorELNS0_4arch9wavefront6targetE1EEEvT1_
		.amdhsa_group_segment_fixed_size 0
		.amdhsa_private_segment_fixed_size 0
		.amdhsa_kernarg_size 120
		.amdhsa_user_sgpr_count 6
		.amdhsa_user_sgpr_private_segment_buffer 1
		.amdhsa_user_sgpr_dispatch_ptr 0
		.amdhsa_user_sgpr_queue_ptr 0
		.amdhsa_user_sgpr_kernarg_segment_ptr 1
		.amdhsa_user_sgpr_dispatch_id 0
		.amdhsa_user_sgpr_flat_scratch_init 0
		.amdhsa_user_sgpr_private_segment_size 0
		.amdhsa_uses_dynamic_stack 0
		.amdhsa_system_sgpr_private_segment_wavefront_offset 0
		.amdhsa_system_sgpr_workgroup_id_x 1
		.amdhsa_system_sgpr_workgroup_id_y 0
		.amdhsa_system_sgpr_workgroup_id_z 0
		.amdhsa_system_sgpr_workgroup_info 0
		.amdhsa_system_vgpr_workitem_id 0
		.amdhsa_next_free_vgpr 1
		.amdhsa_next_free_sgpr 0
		.amdhsa_reserve_vcc 0
		.amdhsa_reserve_flat_scratch 0
		.amdhsa_float_round_mode_32 0
		.amdhsa_float_round_mode_16_64 0
		.amdhsa_float_denorm_mode_32 3
		.amdhsa_float_denorm_mode_16_64 3
		.amdhsa_dx10_clamp 1
		.amdhsa_ieee_mode 1
		.amdhsa_fp16_overflow 0
		.amdhsa_exception_fp_ieee_invalid_op 0
		.amdhsa_exception_fp_denorm_src 0
		.amdhsa_exception_fp_ieee_div_zero 0
		.amdhsa_exception_fp_ieee_overflow 0
		.amdhsa_exception_fp_ieee_underflow 0
		.amdhsa_exception_fp_ieee_inexact 0
		.amdhsa_exception_int_div_zero 0
	.end_amdhsa_kernel
	.section	.text._ZN7rocprim17ROCPRIM_400000_NS6detail17trampoline_kernelINS0_14default_configENS1_27scan_by_key_config_selectorImiEEZZNS1_16scan_by_key_implILNS1_25lookback_scan_determinismE0ELb0ES3_N6thrust23THRUST_200600_302600_NS18transform_iteratorI9row_indexNS9_17counting_iteratorImNS9_11use_defaultESD_SD_EESD_SD_EENS9_6detail15normal_iteratorINS9_10device_ptrIiEEEESK_iNS9_4plusIvEENS9_8equal_toIvEEiEE10hipError_tPvRmT2_T3_T4_T5_mT6_T7_P12ihipStream_tbENKUlT_T0_E_clISt17integral_constantIbLb1EES15_EEDaS10_S11_EUlS10_E_NS1_11comp_targetILNS1_3genE3ELNS1_11target_archE908ELNS1_3gpuE7ELNS1_3repE0EEENS1_30default_config_static_selectorELNS0_4arch9wavefront6targetE1EEEvT1_,"axG",@progbits,_ZN7rocprim17ROCPRIM_400000_NS6detail17trampoline_kernelINS0_14default_configENS1_27scan_by_key_config_selectorImiEEZZNS1_16scan_by_key_implILNS1_25lookback_scan_determinismE0ELb0ES3_N6thrust23THRUST_200600_302600_NS18transform_iteratorI9row_indexNS9_17counting_iteratorImNS9_11use_defaultESD_SD_EESD_SD_EENS9_6detail15normal_iteratorINS9_10device_ptrIiEEEESK_iNS9_4plusIvEENS9_8equal_toIvEEiEE10hipError_tPvRmT2_T3_T4_T5_mT6_T7_P12ihipStream_tbENKUlT_T0_E_clISt17integral_constantIbLb1EES15_EEDaS10_S11_EUlS10_E_NS1_11comp_targetILNS1_3genE3ELNS1_11target_archE908ELNS1_3gpuE7ELNS1_3repE0EEENS1_30default_config_static_selectorELNS0_4arch9wavefront6targetE1EEEvT1_,comdat
.Lfunc_end18:
	.size	_ZN7rocprim17ROCPRIM_400000_NS6detail17trampoline_kernelINS0_14default_configENS1_27scan_by_key_config_selectorImiEEZZNS1_16scan_by_key_implILNS1_25lookback_scan_determinismE0ELb0ES3_N6thrust23THRUST_200600_302600_NS18transform_iteratorI9row_indexNS9_17counting_iteratorImNS9_11use_defaultESD_SD_EESD_SD_EENS9_6detail15normal_iteratorINS9_10device_ptrIiEEEESK_iNS9_4plusIvEENS9_8equal_toIvEEiEE10hipError_tPvRmT2_T3_T4_T5_mT6_T7_P12ihipStream_tbENKUlT_T0_E_clISt17integral_constantIbLb1EES15_EEDaS10_S11_EUlS10_E_NS1_11comp_targetILNS1_3genE3ELNS1_11target_archE908ELNS1_3gpuE7ELNS1_3repE0EEENS1_30default_config_static_selectorELNS0_4arch9wavefront6targetE1EEEvT1_, .Lfunc_end18-_ZN7rocprim17ROCPRIM_400000_NS6detail17trampoline_kernelINS0_14default_configENS1_27scan_by_key_config_selectorImiEEZZNS1_16scan_by_key_implILNS1_25lookback_scan_determinismE0ELb0ES3_N6thrust23THRUST_200600_302600_NS18transform_iteratorI9row_indexNS9_17counting_iteratorImNS9_11use_defaultESD_SD_EESD_SD_EENS9_6detail15normal_iteratorINS9_10device_ptrIiEEEESK_iNS9_4plusIvEENS9_8equal_toIvEEiEE10hipError_tPvRmT2_T3_T4_T5_mT6_T7_P12ihipStream_tbENKUlT_T0_E_clISt17integral_constantIbLb1EES15_EEDaS10_S11_EUlS10_E_NS1_11comp_targetILNS1_3genE3ELNS1_11target_archE908ELNS1_3gpuE7ELNS1_3repE0EEENS1_30default_config_static_selectorELNS0_4arch9wavefront6targetE1EEEvT1_
                                        ; -- End function
	.set _ZN7rocprim17ROCPRIM_400000_NS6detail17trampoline_kernelINS0_14default_configENS1_27scan_by_key_config_selectorImiEEZZNS1_16scan_by_key_implILNS1_25lookback_scan_determinismE0ELb0ES3_N6thrust23THRUST_200600_302600_NS18transform_iteratorI9row_indexNS9_17counting_iteratorImNS9_11use_defaultESD_SD_EESD_SD_EENS9_6detail15normal_iteratorINS9_10device_ptrIiEEEESK_iNS9_4plusIvEENS9_8equal_toIvEEiEE10hipError_tPvRmT2_T3_T4_T5_mT6_T7_P12ihipStream_tbENKUlT_T0_E_clISt17integral_constantIbLb1EES15_EEDaS10_S11_EUlS10_E_NS1_11comp_targetILNS1_3genE3ELNS1_11target_archE908ELNS1_3gpuE7ELNS1_3repE0EEENS1_30default_config_static_selectorELNS0_4arch9wavefront6targetE1EEEvT1_.num_vgpr, 0
	.set _ZN7rocprim17ROCPRIM_400000_NS6detail17trampoline_kernelINS0_14default_configENS1_27scan_by_key_config_selectorImiEEZZNS1_16scan_by_key_implILNS1_25lookback_scan_determinismE0ELb0ES3_N6thrust23THRUST_200600_302600_NS18transform_iteratorI9row_indexNS9_17counting_iteratorImNS9_11use_defaultESD_SD_EESD_SD_EENS9_6detail15normal_iteratorINS9_10device_ptrIiEEEESK_iNS9_4plusIvEENS9_8equal_toIvEEiEE10hipError_tPvRmT2_T3_T4_T5_mT6_T7_P12ihipStream_tbENKUlT_T0_E_clISt17integral_constantIbLb1EES15_EEDaS10_S11_EUlS10_E_NS1_11comp_targetILNS1_3genE3ELNS1_11target_archE908ELNS1_3gpuE7ELNS1_3repE0EEENS1_30default_config_static_selectorELNS0_4arch9wavefront6targetE1EEEvT1_.num_agpr, 0
	.set _ZN7rocprim17ROCPRIM_400000_NS6detail17trampoline_kernelINS0_14default_configENS1_27scan_by_key_config_selectorImiEEZZNS1_16scan_by_key_implILNS1_25lookback_scan_determinismE0ELb0ES3_N6thrust23THRUST_200600_302600_NS18transform_iteratorI9row_indexNS9_17counting_iteratorImNS9_11use_defaultESD_SD_EESD_SD_EENS9_6detail15normal_iteratorINS9_10device_ptrIiEEEESK_iNS9_4plusIvEENS9_8equal_toIvEEiEE10hipError_tPvRmT2_T3_T4_T5_mT6_T7_P12ihipStream_tbENKUlT_T0_E_clISt17integral_constantIbLb1EES15_EEDaS10_S11_EUlS10_E_NS1_11comp_targetILNS1_3genE3ELNS1_11target_archE908ELNS1_3gpuE7ELNS1_3repE0EEENS1_30default_config_static_selectorELNS0_4arch9wavefront6targetE1EEEvT1_.numbered_sgpr, 0
	.set _ZN7rocprim17ROCPRIM_400000_NS6detail17trampoline_kernelINS0_14default_configENS1_27scan_by_key_config_selectorImiEEZZNS1_16scan_by_key_implILNS1_25lookback_scan_determinismE0ELb0ES3_N6thrust23THRUST_200600_302600_NS18transform_iteratorI9row_indexNS9_17counting_iteratorImNS9_11use_defaultESD_SD_EESD_SD_EENS9_6detail15normal_iteratorINS9_10device_ptrIiEEEESK_iNS9_4plusIvEENS9_8equal_toIvEEiEE10hipError_tPvRmT2_T3_T4_T5_mT6_T7_P12ihipStream_tbENKUlT_T0_E_clISt17integral_constantIbLb1EES15_EEDaS10_S11_EUlS10_E_NS1_11comp_targetILNS1_3genE3ELNS1_11target_archE908ELNS1_3gpuE7ELNS1_3repE0EEENS1_30default_config_static_selectorELNS0_4arch9wavefront6targetE1EEEvT1_.num_named_barrier, 0
	.set _ZN7rocprim17ROCPRIM_400000_NS6detail17trampoline_kernelINS0_14default_configENS1_27scan_by_key_config_selectorImiEEZZNS1_16scan_by_key_implILNS1_25lookback_scan_determinismE0ELb0ES3_N6thrust23THRUST_200600_302600_NS18transform_iteratorI9row_indexNS9_17counting_iteratorImNS9_11use_defaultESD_SD_EESD_SD_EENS9_6detail15normal_iteratorINS9_10device_ptrIiEEEESK_iNS9_4plusIvEENS9_8equal_toIvEEiEE10hipError_tPvRmT2_T3_T4_T5_mT6_T7_P12ihipStream_tbENKUlT_T0_E_clISt17integral_constantIbLb1EES15_EEDaS10_S11_EUlS10_E_NS1_11comp_targetILNS1_3genE3ELNS1_11target_archE908ELNS1_3gpuE7ELNS1_3repE0EEENS1_30default_config_static_selectorELNS0_4arch9wavefront6targetE1EEEvT1_.private_seg_size, 0
	.set _ZN7rocprim17ROCPRIM_400000_NS6detail17trampoline_kernelINS0_14default_configENS1_27scan_by_key_config_selectorImiEEZZNS1_16scan_by_key_implILNS1_25lookback_scan_determinismE0ELb0ES3_N6thrust23THRUST_200600_302600_NS18transform_iteratorI9row_indexNS9_17counting_iteratorImNS9_11use_defaultESD_SD_EESD_SD_EENS9_6detail15normal_iteratorINS9_10device_ptrIiEEEESK_iNS9_4plusIvEENS9_8equal_toIvEEiEE10hipError_tPvRmT2_T3_T4_T5_mT6_T7_P12ihipStream_tbENKUlT_T0_E_clISt17integral_constantIbLb1EES15_EEDaS10_S11_EUlS10_E_NS1_11comp_targetILNS1_3genE3ELNS1_11target_archE908ELNS1_3gpuE7ELNS1_3repE0EEENS1_30default_config_static_selectorELNS0_4arch9wavefront6targetE1EEEvT1_.uses_vcc, 0
	.set _ZN7rocprim17ROCPRIM_400000_NS6detail17trampoline_kernelINS0_14default_configENS1_27scan_by_key_config_selectorImiEEZZNS1_16scan_by_key_implILNS1_25lookback_scan_determinismE0ELb0ES3_N6thrust23THRUST_200600_302600_NS18transform_iteratorI9row_indexNS9_17counting_iteratorImNS9_11use_defaultESD_SD_EESD_SD_EENS9_6detail15normal_iteratorINS9_10device_ptrIiEEEESK_iNS9_4plusIvEENS9_8equal_toIvEEiEE10hipError_tPvRmT2_T3_T4_T5_mT6_T7_P12ihipStream_tbENKUlT_T0_E_clISt17integral_constantIbLb1EES15_EEDaS10_S11_EUlS10_E_NS1_11comp_targetILNS1_3genE3ELNS1_11target_archE908ELNS1_3gpuE7ELNS1_3repE0EEENS1_30default_config_static_selectorELNS0_4arch9wavefront6targetE1EEEvT1_.uses_flat_scratch, 0
	.set _ZN7rocprim17ROCPRIM_400000_NS6detail17trampoline_kernelINS0_14default_configENS1_27scan_by_key_config_selectorImiEEZZNS1_16scan_by_key_implILNS1_25lookback_scan_determinismE0ELb0ES3_N6thrust23THRUST_200600_302600_NS18transform_iteratorI9row_indexNS9_17counting_iteratorImNS9_11use_defaultESD_SD_EESD_SD_EENS9_6detail15normal_iteratorINS9_10device_ptrIiEEEESK_iNS9_4plusIvEENS9_8equal_toIvEEiEE10hipError_tPvRmT2_T3_T4_T5_mT6_T7_P12ihipStream_tbENKUlT_T0_E_clISt17integral_constantIbLb1EES15_EEDaS10_S11_EUlS10_E_NS1_11comp_targetILNS1_3genE3ELNS1_11target_archE908ELNS1_3gpuE7ELNS1_3repE0EEENS1_30default_config_static_selectorELNS0_4arch9wavefront6targetE1EEEvT1_.has_dyn_sized_stack, 0
	.set _ZN7rocprim17ROCPRIM_400000_NS6detail17trampoline_kernelINS0_14default_configENS1_27scan_by_key_config_selectorImiEEZZNS1_16scan_by_key_implILNS1_25lookback_scan_determinismE0ELb0ES3_N6thrust23THRUST_200600_302600_NS18transform_iteratorI9row_indexNS9_17counting_iteratorImNS9_11use_defaultESD_SD_EESD_SD_EENS9_6detail15normal_iteratorINS9_10device_ptrIiEEEESK_iNS9_4plusIvEENS9_8equal_toIvEEiEE10hipError_tPvRmT2_T3_T4_T5_mT6_T7_P12ihipStream_tbENKUlT_T0_E_clISt17integral_constantIbLb1EES15_EEDaS10_S11_EUlS10_E_NS1_11comp_targetILNS1_3genE3ELNS1_11target_archE908ELNS1_3gpuE7ELNS1_3repE0EEENS1_30default_config_static_selectorELNS0_4arch9wavefront6targetE1EEEvT1_.has_recursion, 0
	.set _ZN7rocprim17ROCPRIM_400000_NS6detail17trampoline_kernelINS0_14default_configENS1_27scan_by_key_config_selectorImiEEZZNS1_16scan_by_key_implILNS1_25lookback_scan_determinismE0ELb0ES3_N6thrust23THRUST_200600_302600_NS18transform_iteratorI9row_indexNS9_17counting_iteratorImNS9_11use_defaultESD_SD_EESD_SD_EENS9_6detail15normal_iteratorINS9_10device_ptrIiEEEESK_iNS9_4plusIvEENS9_8equal_toIvEEiEE10hipError_tPvRmT2_T3_T4_T5_mT6_T7_P12ihipStream_tbENKUlT_T0_E_clISt17integral_constantIbLb1EES15_EEDaS10_S11_EUlS10_E_NS1_11comp_targetILNS1_3genE3ELNS1_11target_archE908ELNS1_3gpuE7ELNS1_3repE0EEENS1_30default_config_static_selectorELNS0_4arch9wavefront6targetE1EEEvT1_.has_indirect_call, 0
	.section	.AMDGPU.csdata,"",@progbits
; Kernel info:
; codeLenInByte = 0
; TotalNumSgprs: 4
; NumVgprs: 0
; ScratchSize: 0
; MemoryBound: 0
; FloatMode: 240
; IeeeMode: 1
; LDSByteSize: 0 bytes/workgroup (compile time only)
; SGPRBlocks: 0
; VGPRBlocks: 0
; NumSGPRsForWavesPerEU: 4
; NumVGPRsForWavesPerEU: 1
; Occupancy: 10
; WaveLimiterHint : 0
; COMPUTE_PGM_RSRC2:SCRATCH_EN: 0
; COMPUTE_PGM_RSRC2:USER_SGPR: 6
; COMPUTE_PGM_RSRC2:TRAP_HANDLER: 0
; COMPUTE_PGM_RSRC2:TGID_X_EN: 1
; COMPUTE_PGM_RSRC2:TGID_Y_EN: 0
; COMPUTE_PGM_RSRC2:TGID_Z_EN: 0
; COMPUTE_PGM_RSRC2:TIDIG_COMP_CNT: 0
	.section	.text._ZN7rocprim17ROCPRIM_400000_NS6detail17trampoline_kernelINS0_14default_configENS1_27scan_by_key_config_selectorImiEEZZNS1_16scan_by_key_implILNS1_25lookback_scan_determinismE0ELb0ES3_N6thrust23THRUST_200600_302600_NS18transform_iteratorI9row_indexNS9_17counting_iteratorImNS9_11use_defaultESD_SD_EESD_SD_EENS9_6detail15normal_iteratorINS9_10device_ptrIiEEEESK_iNS9_4plusIvEENS9_8equal_toIvEEiEE10hipError_tPvRmT2_T3_T4_T5_mT6_T7_P12ihipStream_tbENKUlT_T0_E_clISt17integral_constantIbLb1EES15_EEDaS10_S11_EUlS10_E_NS1_11comp_targetILNS1_3genE2ELNS1_11target_archE906ELNS1_3gpuE6ELNS1_3repE0EEENS1_30default_config_static_selectorELNS0_4arch9wavefront6targetE1EEEvT1_,"axG",@progbits,_ZN7rocprim17ROCPRIM_400000_NS6detail17trampoline_kernelINS0_14default_configENS1_27scan_by_key_config_selectorImiEEZZNS1_16scan_by_key_implILNS1_25lookback_scan_determinismE0ELb0ES3_N6thrust23THRUST_200600_302600_NS18transform_iteratorI9row_indexNS9_17counting_iteratorImNS9_11use_defaultESD_SD_EESD_SD_EENS9_6detail15normal_iteratorINS9_10device_ptrIiEEEESK_iNS9_4plusIvEENS9_8equal_toIvEEiEE10hipError_tPvRmT2_T3_T4_T5_mT6_T7_P12ihipStream_tbENKUlT_T0_E_clISt17integral_constantIbLb1EES15_EEDaS10_S11_EUlS10_E_NS1_11comp_targetILNS1_3genE2ELNS1_11target_archE906ELNS1_3gpuE6ELNS1_3repE0EEENS1_30default_config_static_selectorELNS0_4arch9wavefront6targetE1EEEvT1_,comdat
	.protected	_ZN7rocprim17ROCPRIM_400000_NS6detail17trampoline_kernelINS0_14default_configENS1_27scan_by_key_config_selectorImiEEZZNS1_16scan_by_key_implILNS1_25lookback_scan_determinismE0ELb0ES3_N6thrust23THRUST_200600_302600_NS18transform_iteratorI9row_indexNS9_17counting_iteratorImNS9_11use_defaultESD_SD_EESD_SD_EENS9_6detail15normal_iteratorINS9_10device_ptrIiEEEESK_iNS9_4plusIvEENS9_8equal_toIvEEiEE10hipError_tPvRmT2_T3_T4_T5_mT6_T7_P12ihipStream_tbENKUlT_T0_E_clISt17integral_constantIbLb1EES15_EEDaS10_S11_EUlS10_E_NS1_11comp_targetILNS1_3genE2ELNS1_11target_archE906ELNS1_3gpuE6ELNS1_3repE0EEENS1_30default_config_static_selectorELNS0_4arch9wavefront6targetE1EEEvT1_ ; -- Begin function _ZN7rocprim17ROCPRIM_400000_NS6detail17trampoline_kernelINS0_14default_configENS1_27scan_by_key_config_selectorImiEEZZNS1_16scan_by_key_implILNS1_25lookback_scan_determinismE0ELb0ES3_N6thrust23THRUST_200600_302600_NS18transform_iteratorI9row_indexNS9_17counting_iteratorImNS9_11use_defaultESD_SD_EESD_SD_EENS9_6detail15normal_iteratorINS9_10device_ptrIiEEEESK_iNS9_4plusIvEENS9_8equal_toIvEEiEE10hipError_tPvRmT2_T3_T4_T5_mT6_T7_P12ihipStream_tbENKUlT_T0_E_clISt17integral_constantIbLb1EES15_EEDaS10_S11_EUlS10_E_NS1_11comp_targetILNS1_3genE2ELNS1_11target_archE906ELNS1_3gpuE6ELNS1_3repE0EEENS1_30default_config_static_selectorELNS0_4arch9wavefront6targetE1EEEvT1_
	.globl	_ZN7rocprim17ROCPRIM_400000_NS6detail17trampoline_kernelINS0_14default_configENS1_27scan_by_key_config_selectorImiEEZZNS1_16scan_by_key_implILNS1_25lookback_scan_determinismE0ELb0ES3_N6thrust23THRUST_200600_302600_NS18transform_iteratorI9row_indexNS9_17counting_iteratorImNS9_11use_defaultESD_SD_EESD_SD_EENS9_6detail15normal_iteratorINS9_10device_ptrIiEEEESK_iNS9_4plusIvEENS9_8equal_toIvEEiEE10hipError_tPvRmT2_T3_T4_T5_mT6_T7_P12ihipStream_tbENKUlT_T0_E_clISt17integral_constantIbLb1EES15_EEDaS10_S11_EUlS10_E_NS1_11comp_targetILNS1_3genE2ELNS1_11target_archE906ELNS1_3gpuE6ELNS1_3repE0EEENS1_30default_config_static_selectorELNS0_4arch9wavefront6targetE1EEEvT1_
	.p2align	8
	.type	_ZN7rocprim17ROCPRIM_400000_NS6detail17trampoline_kernelINS0_14default_configENS1_27scan_by_key_config_selectorImiEEZZNS1_16scan_by_key_implILNS1_25lookback_scan_determinismE0ELb0ES3_N6thrust23THRUST_200600_302600_NS18transform_iteratorI9row_indexNS9_17counting_iteratorImNS9_11use_defaultESD_SD_EESD_SD_EENS9_6detail15normal_iteratorINS9_10device_ptrIiEEEESK_iNS9_4plusIvEENS9_8equal_toIvEEiEE10hipError_tPvRmT2_T3_T4_T5_mT6_T7_P12ihipStream_tbENKUlT_T0_E_clISt17integral_constantIbLb1EES15_EEDaS10_S11_EUlS10_E_NS1_11comp_targetILNS1_3genE2ELNS1_11target_archE906ELNS1_3gpuE6ELNS1_3repE0EEENS1_30default_config_static_selectorELNS0_4arch9wavefront6targetE1EEEvT1_,@function
_ZN7rocprim17ROCPRIM_400000_NS6detail17trampoline_kernelINS0_14default_configENS1_27scan_by_key_config_selectorImiEEZZNS1_16scan_by_key_implILNS1_25lookback_scan_determinismE0ELb0ES3_N6thrust23THRUST_200600_302600_NS18transform_iteratorI9row_indexNS9_17counting_iteratorImNS9_11use_defaultESD_SD_EESD_SD_EENS9_6detail15normal_iteratorINS9_10device_ptrIiEEEESK_iNS9_4plusIvEENS9_8equal_toIvEEiEE10hipError_tPvRmT2_T3_T4_T5_mT6_T7_P12ihipStream_tbENKUlT_T0_E_clISt17integral_constantIbLb1EES15_EEDaS10_S11_EUlS10_E_NS1_11comp_targetILNS1_3genE2ELNS1_11target_archE906ELNS1_3gpuE6ELNS1_3repE0EEENS1_30default_config_static_selectorELNS0_4arch9wavefront6targetE1EEEvT1_: ; @_ZN7rocprim17ROCPRIM_400000_NS6detail17trampoline_kernelINS0_14default_configENS1_27scan_by_key_config_selectorImiEEZZNS1_16scan_by_key_implILNS1_25lookback_scan_determinismE0ELb0ES3_N6thrust23THRUST_200600_302600_NS18transform_iteratorI9row_indexNS9_17counting_iteratorImNS9_11use_defaultESD_SD_EESD_SD_EENS9_6detail15normal_iteratorINS9_10device_ptrIiEEEESK_iNS9_4plusIvEENS9_8equal_toIvEEiEE10hipError_tPvRmT2_T3_T4_T5_mT6_T7_P12ihipStream_tbENKUlT_T0_E_clISt17integral_constantIbLb1EES15_EEDaS10_S11_EUlS10_E_NS1_11comp_targetILNS1_3genE2ELNS1_11target_archE906ELNS1_3gpuE6ELNS1_3repE0EEENS1_30default_config_static_selectorELNS0_4arch9wavefront6targetE1EEEvT1_
; %bb.0:
	s_endpgm
	.section	.rodata,"a",@progbits
	.p2align	6, 0x0
	.amdhsa_kernel _ZN7rocprim17ROCPRIM_400000_NS6detail17trampoline_kernelINS0_14default_configENS1_27scan_by_key_config_selectorImiEEZZNS1_16scan_by_key_implILNS1_25lookback_scan_determinismE0ELb0ES3_N6thrust23THRUST_200600_302600_NS18transform_iteratorI9row_indexNS9_17counting_iteratorImNS9_11use_defaultESD_SD_EESD_SD_EENS9_6detail15normal_iteratorINS9_10device_ptrIiEEEESK_iNS9_4plusIvEENS9_8equal_toIvEEiEE10hipError_tPvRmT2_T3_T4_T5_mT6_T7_P12ihipStream_tbENKUlT_T0_E_clISt17integral_constantIbLb1EES15_EEDaS10_S11_EUlS10_E_NS1_11comp_targetILNS1_3genE2ELNS1_11target_archE906ELNS1_3gpuE6ELNS1_3repE0EEENS1_30default_config_static_selectorELNS0_4arch9wavefront6targetE1EEEvT1_
		.amdhsa_group_segment_fixed_size 0
		.amdhsa_private_segment_fixed_size 0
		.amdhsa_kernarg_size 120
		.amdhsa_user_sgpr_count 6
		.amdhsa_user_sgpr_private_segment_buffer 1
		.amdhsa_user_sgpr_dispatch_ptr 0
		.amdhsa_user_sgpr_queue_ptr 0
		.amdhsa_user_sgpr_kernarg_segment_ptr 1
		.amdhsa_user_sgpr_dispatch_id 0
		.amdhsa_user_sgpr_flat_scratch_init 0
		.amdhsa_user_sgpr_private_segment_size 0
		.amdhsa_uses_dynamic_stack 0
		.amdhsa_system_sgpr_private_segment_wavefront_offset 0
		.amdhsa_system_sgpr_workgroup_id_x 1
		.amdhsa_system_sgpr_workgroup_id_y 0
		.amdhsa_system_sgpr_workgroup_id_z 0
		.amdhsa_system_sgpr_workgroup_info 0
		.amdhsa_system_vgpr_workitem_id 0
		.amdhsa_next_free_vgpr 1
		.amdhsa_next_free_sgpr 0
		.amdhsa_reserve_vcc 0
		.amdhsa_reserve_flat_scratch 0
		.amdhsa_float_round_mode_32 0
		.amdhsa_float_round_mode_16_64 0
		.amdhsa_float_denorm_mode_32 3
		.amdhsa_float_denorm_mode_16_64 3
		.amdhsa_dx10_clamp 1
		.amdhsa_ieee_mode 1
		.amdhsa_fp16_overflow 0
		.amdhsa_exception_fp_ieee_invalid_op 0
		.amdhsa_exception_fp_denorm_src 0
		.amdhsa_exception_fp_ieee_div_zero 0
		.amdhsa_exception_fp_ieee_overflow 0
		.amdhsa_exception_fp_ieee_underflow 0
		.amdhsa_exception_fp_ieee_inexact 0
		.amdhsa_exception_int_div_zero 0
	.end_amdhsa_kernel
	.section	.text._ZN7rocprim17ROCPRIM_400000_NS6detail17trampoline_kernelINS0_14default_configENS1_27scan_by_key_config_selectorImiEEZZNS1_16scan_by_key_implILNS1_25lookback_scan_determinismE0ELb0ES3_N6thrust23THRUST_200600_302600_NS18transform_iteratorI9row_indexNS9_17counting_iteratorImNS9_11use_defaultESD_SD_EESD_SD_EENS9_6detail15normal_iteratorINS9_10device_ptrIiEEEESK_iNS9_4plusIvEENS9_8equal_toIvEEiEE10hipError_tPvRmT2_T3_T4_T5_mT6_T7_P12ihipStream_tbENKUlT_T0_E_clISt17integral_constantIbLb1EES15_EEDaS10_S11_EUlS10_E_NS1_11comp_targetILNS1_3genE2ELNS1_11target_archE906ELNS1_3gpuE6ELNS1_3repE0EEENS1_30default_config_static_selectorELNS0_4arch9wavefront6targetE1EEEvT1_,"axG",@progbits,_ZN7rocprim17ROCPRIM_400000_NS6detail17trampoline_kernelINS0_14default_configENS1_27scan_by_key_config_selectorImiEEZZNS1_16scan_by_key_implILNS1_25lookback_scan_determinismE0ELb0ES3_N6thrust23THRUST_200600_302600_NS18transform_iteratorI9row_indexNS9_17counting_iteratorImNS9_11use_defaultESD_SD_EESD_SD_EENS9_6detail15normal_iteratorINS9_10device_ptrIiEEEESK_iNS9_4plusIvEENS9_8equal_toIvEEiEE10hipError_tPvRmT2_T3_T4_T5_mT6_T7_P12ihipStream_tbENKUlT_T0_E_clISt17integral_constantIbLb1EES15_EEDaS10_S11_EUlS10_E_NS1_11comp_targetILNS1_3genE2ELNS1_11target_archE906ELNS1_3gpuE6ELNS1_3repE0EEENS1_30default_config_static_selectorELNS0_4arch9wavefront6targetE1EEEvT1_,comdat
.Lfunc_end19:
	.size	_ZN7rocprim17ROCPRIM_400000_NS6detail17trampoline_kernelINS0_14default_configENS1_27scan_by_key_config_selectorImiEEZZNS1_16scan_by_key_implILNS1_25lookback_scan_determinismE0ELb0ES3_N6thrust23THRUST_200600_302600_NS18transform_iteratorI9row_indexNS9_17counting_iteratorImNS9_11use_defaultESD_SD_EESD_SD_EENS9_6detail15normal_iteratorINS9_10device_ptrIiEEEESK_iNS9_4plusIvEENS9_8equal_toIvEEiEE10hipError_tPvRmT2_T3_T4_T5_mT6_T7_P12ihipStream_tbENKUlT_T0_E_clISt17integral_constantIbLb1EES15_EEDaS10_S11_EUlS10_E_NS1_11comp_targetILNS1_3genE2ELNS1_11target_archE906ELNS1_3gpuE6ELNS1_3repE0EEENS1_30default_config_static_selectorELNS0_4arch9wavefront6targetE1EEEvT1_, .Lfunc_end19-_ZN7rocprim17ROCPRIM_400000_NS6detail17trampoline_kernelINS0_14default_configENS1_27scan_by_key_config_selectorImiEEZZNS1_16scan_by_key_implILNS1_25lookback_scan_determinismE0ELb0ES3_N6thrust23THRUST_200600_302600_NS18transform_iteratorI9row_indexNS9_17counting_iteratorImNS9_11use_defaultESD_SD_EESD_SD_EENS9_6detail15normal_iteratorINS9_10device_ptrIiEEEESK_iNS9_4plusIvEENS9_8equal_toIvEEiEE10hipError_tPvRmT2_T3_T4_T5_mT6_T7_P12ihipStream_tbENKUlT_T0_E_clISt17integral_constantIbLb1EES15_EEDaS10_S11_EUlS10_E_NS1_11comp_targetILNS1_3genE2ELNS1_11target_archE906ELNS1_3gpuE6ELNS1_3repE0EEENS1_30default_config_static_selectorELNS0_4arch9wavefront6targetE1EEEvT1_
                                        ; -- End function
	.set _ZN7rocprim17ROCPRIM_400000_NS6detail17trampoline_kernelINS0_14default_configENS1_27scan_by_key_config_selectorImiEEZZNS1_16scan_by_key_implILNS1_25lookback_scan_determinismE0ELb0ES3_N6thrust23THRUST_200600_302600_NS18transform_iteratorI9row_indexNS9_17counting_iteratorImNS9_11use_defaultESD_SD_EESD_SD_EENS9_6detail15normal_iteratorINS9_10device_ptrIiEEEESK_iNS9_4plusIvEENS9_8equal_toIvEEiEE10hipError_tPvRmT2_T3_T4_T5_mT6_T7_P12ihipStream_tbENKUlT_T0_E_clISt17integral_constantIbLb1EES15_EEDaS10_S11_EUlS10_E_NS1_11comp_targetILNS1_3genE2ELNS1_11target_archE906ELNS1_3gpuE6ELNS1_3repE0EEENS1_30default_config_static_selectorELNS0_4arch9wavefront6targetE1EEEvT1_.num_vgpr, 0
	.set _ZN7rocprim17ROCPRIM_400000_NS6detail17trampoline_kernelINS0_14default_configENS1_27scan_by_key_config_selectorImiEEZZNS1_16scan_by_key_implILNS1_25lookback_scan_determinismE0ELb0ES3_N6thrust23THRUST_200600_302600_NS18transform_iteratorI9row_indexNS9_17counting_iteratorImNS9_11use_defaultESD_SD_EESD_SD_EENS9_6detail15normal_iteratorINS9_10device_ptrIiEEEESK_iNS9_4plusIvEENS9_8equal_toIvEEiEE10hipError_tPvRmT2_T3_T4_T5_mT6_T7_P12ihipStream_tbENKUlT_T0_E_clISt17integral_constantIbLb1EES15_EEDaS10_S11_EUlS10_E_NS1_11comp_targetILNS1_3genE2ELNS1_11target_archE906ELNS1_3gpuE6ELNS1_3repE0EEENS1_30default_config_static_selectorELNS0_4arch9wavefront6targetE1EEEvT1_.num_agpr, 0
	.set _ZN7rocprim17ROCPRIM_400000_NS6detail17trampoline_kernelINS0_14default_configENS1_27scan_by_key_config_selectorImiEEZZNS1_16scan_by_key_implILNS1_25lookback_scan_determinismE0ELb0ES3_N6thrust23THRUST_200600_302600_NS18transform_iteratorI9row_indexNS9_17counting_iteratorImNS9_11use_defaultESD_SD_EESD_SD_EENS9_6detail15normal_iteratorINS9_10device_ptrIiEEEESK_iNS9_4plusIvEENS9_8equal_toIvEEiEE10hipError_tPvRmT2_T3_T4_T5_mT6_T7_P12ihipStream_tbENKUlT_T0_E_clISt17integral_constantIbLb1EES15_EEDaS10_S11_EUlS10_E_NS1_11comp_targetILNS1_3genE2ELNS1_11target_archE906ELNS1_3gpuE6ELNS1_3repE0EEENS1_30default_config_static_selectorELNS0_4arch9wavefront6targetE1EEEvT1_.numbered_sgpr, 0
	.set _ZN7rocprim17ROCPRIM_400000_NS6detail17trampoline_kernelINS0_14default_configENS1_27scan_by_key_config_selectorImiEEZZNS1_16scan_by_key_implILNS1_25lookback_scan_determinismE0ELb0ES3_N6thrust23THRUST_200600_302600_NS18transform_iteratorI9row_indexNS9_17counting_iteratorImNS9_11use_defaultESD_SD_EESD_SD_EENS9_6detail15normal_iteratorINS9_10device_ptrIiEEEESK_iNS9_4plusIvEENS9_8equal_toIvEEiEE10hipError_tPvRmT2_T3_T4_T5_mT6_T7_P12ihipStream_tbENKUlT_T0_E_clISt17integral_constantIbLb1EES15_EEDaS10_S11_EUlS10_E_NS1_11comp_targetILNS1_3genE2ELNS1_11target_archE906ELNS1_3gpuE6ELNS1_3repE0EEENS1_30default_config_static_selectorELNS0_4arch9wavefront6targetE1EEEvT1_.num_named_barrier, 0
	.set _ZN7rocprim17ROCPRIM_400000_NS6detail17trampoline_kernelINS0_14default_configENS1_27scan_by_key_config_selectorImiEEZZNS1_16scan_by_key_implILNS1_25lookback_scan_determinismE0ELb0ES3_N6thrust23THRUST_200600_302600_NS18transform_iteratorI9row_indexNS9_17counting_iteratorImNS9_11use_defaultESD_SD_EESD_SD_EENS9_6detail15normal_iteratorINS9_10device_ptrIiEEEESK_iNS9_4plusIvEENS9_8equal_toIvEEiEE10hipError_tPvRmT2_T3_T4_T5_mT6_T7_P12ihipStream_tbENKUlT_T0_E_clISt17integral_constantIbLb1EES15_EEDaS10_S11_EUlS10_E_NS1_11comp_targetILNS1_3genE2ELNS1_11target_archE906ELNS1_3gpuE6ELNS1_3repE0EEENS1_30default_config_static_selectorELNS0_4arch9wavefront6targetE1EEEvT1_.private_seg_size, 0
	.set _ZN7rocprim17ROCPRIM_400000_NS6detail17trampoline_kernelINS0_14default_configENS1_27scan_by_key_config_selectorImiEEZZNS1_16scan_by_key_implILNS1_25lookback_scan_determinismE0ELb0ES3_N6thrust23THRUST_200600_302600_NS18transform_iteratorI9row_indexNS9_17counting_iteratorImNS9_11use_defaultESD_SD_EESD_SD_EENS9_6detail15normal_iteratorINS9_10device_ptrIiEEEESK_iNS9_4plusIvEENS9_8equal_toIvEEiEE10hipError_tPvRmT2_T3_T4_T5_mT6_T7_P12ihipStream_tbENKUlT_T0_E_clISt17integral_constantIbLb1EES15_EEDaS10_S11_EUlS10_E_NS1_11comp_targetILNS1_3genE2ELNS1_11target_archE906ELNS1_3gpuE6ELNS1_3repE0EEENS1_30default_config_static_selectorELNS0_4arch9wavefront6targetE1EEEvT1_.uses_vcc, 0
	.set _ZN7rocprim17ROCPRIM_400000_NS6detail17trampoline_kernelINS0_14default_configENS1_27scan_by_key_config_selectorImiEEZZNS1_16scan_by_key_implILNS1_25lookback_scan_determinismE0ELb0ES3_N6thrust23THRUST_200600_302600_NS18transform_iteratorI9row_indexNS9_17counting_iteratorImNS9_11use_defaultESD_SD_EESD_SD_EENS9_6detail15normal_iteratorINS9_10device_ptrIiEEEESK_iNS9_4plusIvEENS9_8equal_toIvEEiEE10hipError_tPvRmT2_T3_T4_T5_mT6_T7_P12ihipStream_tbENKUlT_T0_E_clISt17integral_constantIbLb1EES15_EEDaS10_S11_EUlS10_E_NS1_11comp_targetILNS1_3genE2ELNS1_11target_archE906ELNS1_3gpuE6ELNS1_3repE0EEENS1_30default_config_static_selectorELNS0_4arch9wavefront6targetE1EEEvT1_.uses_flat_scratch, 0
	.set _ZN7rocprim17ROCPRIM_400000_NS6detail17trampoline_kernelINS0_14default_configENS1_27scan_by_key_config_selectorImiEEZZNS1_16scan_by_key_implILNS1_25lookback_scan_determinismE0ELb0ES3_N6thrust23THRUST_200600_302600_NS18transform_iteratorI9row_indexNS9_17counting_iteratorImNS9_11use_defaultESD_SD_EESD_SD_EENS9_6detail15normal_iteratorINS9_10device_ptrIiEEEESK_iNS9_4plusIvEENS9_8equal_toIvEEiEE10hipError_tPvRmT2_T3_T4_T5_mT6_T7_P12ihipStream_tbENKUlT_T0_E_clISt17integral_constantIbLb1EES15_EEDaS10_S11_EUlS10_E_NS1_11comp_targetILNS1_3genE2ELNS1_11target_archE906ELNS1_3gpuE6ELNS1_3repE0EEENS1_30default_config_static_selectorELNS0_4arch9wavefront6targetE1EEEvT1_.has_dyn_sized_stack, 0
	.set _ZN7rocprim17ROCPRIM_400000_NS6detail17trampoline_kernelINS0_14default_configENS1_27scan_by_key_config_selectorImiEEZZNS1_16scan_by_key_implILNS1_25lookback_scan_determinismE0ELb0ES3_N6thrust23THRUST_200600_302600_NS18transform_iteratorI9row_indexNS9_17counting_iteratorImNS9_11use_defaultESD_SD_EESD_SD_EENS9_6detail15normal_iteratorINS9_10device_ptrIiEEEESK_iNS9_4plusIvEENS9_8equal_toIvEEiEE10hipError_tPvRmT2_T3_T4_T5_mT6_T7_P12ihipStream_tbENKUlT_T0_E_clISt17integral_constantIbLb1EES15_EEDaS10_S11_EUlS10_E_NS1_11comp_targetILNS1_3genE2ELNS1_11target_archE906ELNS1_3gpuE6ELNS1_3repE0EEENS1_30default_config_static_selectorELNS0_4arch9wavefront6targetE1EEEvT1_.has_recursion, 0
	.set _ZN7rocprim17ROCPRIM_400000_NS6detail17trampoline_kernelINS0_14default_configENS1_27scan_by_key_config_selectorImiEEZZNS1_16scan_by_key_implILNS1_25lookback_scan_determinismE0ELb0ES3_N6thrust23THRUST_200600_302600_NS18transform_iteratorI9row_indexNS9_17counting_iteratorImNS9_11use_defaultESD_SD_EESD_SD_EENS9_6detail15normal_iteratorINS9_10device_ptrIiEEEESK_iNS9_4plusIvEENS9_8equal_toIvEEiEE10hipError_tPvRmT2_T3_T4_T5_mT6_T7_P12ihipStream_tbENKUlT_T0_E_clISt17integral_constantIbLb1EES15_EEDaS10_S11_EUlS10_E_NS1_11comp_targetILNS1_3genE2ELNS1_11target_archE906ELNS1_3gpuE6ELNS1_3repE0EEENS1_30default_config_static_selectorELNS0_4arch9wavefront6targetE1EEEvT1_.has_indirect_call, 0
	.section	.AMDGPU.csdata,"",@progbits
; Kernel info:
; codeLenInByte = 4
; TotalNumSgprs: 4
; NumVgprs: 0
; ScratchSize: 0
; MemoryBound: 0
; FloatMode: 240
; IeeeMode: 1
; LDSByteSize: 0 bytes/workgroup (compile time only)
; SGPRBlocks: 0
; VGPRBlocks: 0
; NumSGPRsForWavesPerEU: 4
; NumVGPRsForWavesPerEU: 1
; Occupancy: 10
; WaveLimiterHint : 0
; COMPUTE_PGM_RSRC2:SCRATCH_EN: 0
; COMPUTE_PGM_RSRC2:USER_SGPR: 6
; COMPUTE_PGM_RSRC2:TRAP_HANDLER: 0
; COMPUTE_PGM_RSRC2:TGID_X_EN: 1
; COMPUTE_PGM_RSRC2:TGID_Y_EN: 0
; COMPUTE_PGM_RSRC2:TGID_Z_EN: 0
; COMPUTE_PGM_RSRC2:TIDIG_COMP_CNT: 0
	.section	.text._ZN7rocprim17ROCPRIM_400000_NS6detail17trampoline_kernelINS0_14default_configENS1_27scan_by_key_config_selectorImiEEZZNS1_16scan_by_key_implILNS1_25lookback_scan_determinismE0ELb0ES3_N6thrust23THRUST_200600_302600_NS18transform_iteratorI9row_indexNS9_17counting_iteratorImNS9_11use_defaultESD_SD_EESD_SD_EENS9_6detail15normal_iteratorINS9_10device_ptrIiEEEESK_iNS9_4plusIvEENS9_8equal_toIvEEiEE10hipError_tPvRmT2_T3_T4_T5_mT6_T7_P12ihipStream_tbENKUlT_T0_E_clISt17integral_constantIbLb1EES15_EEDaS10_S11_EUlS10_E_NS1_11comp_targetILNS1_3genE10ELNS1_11target_archE1200ELNS1_3gpuE4ELNS1_3repE0EEENS1_30default_config_static_selectorELNS0_4arch9wavefront6targetE1EEEvT1_,"axG",@progbits,_ZN7rocprim17ROCPRIM_400000_NS6detail17trampoline_kernelINS0_14default_configENS1_27scan_by_key_config_selectorImiEEZZNS1_16scan_by_key_implILNS1_25lookback_scan_determinismE0ELb0ES3_N6thrust23THRUST_200600_302600_NS18transform_iteratorI9row_indexNS9_17counting_iteratorImNS9_11use_defaultESD_SD_EESD_SD_EENS9_6detail15normal_iteratorINS9_10device_ptrIiEEEESK_iNS9_4plusIvEENS9_8equal_toIvEEiEE10hipError_tPvRmT2_T3_T4_T5_mT6_T7_P12ihipStream_tbENKUlT_T0_E_clISt17integral_constantIbLb1EES15_EEDaS10_S11_EUlS10_E_NS1_11comp_targetILNS1_3genE10ELNS1_11target_archE1200ELNS1_3gpuE4ELNS1_3repE0EEENS1_30default_config_static_selectorELNS0_4arch9wavefront6targetE1EEEvT1_,comdat
	.protected	_ZN7rocprim17ROCPRIM_400000_NS6detail17trampoline_kernelINS0_14default_configENS1_27scan_by_key_config_selectorImiEEZZNS1_16scan_by_key_implILNS1_25lookback_scan_determinismE0ELb0ES3_N6thrust23THRUST_200600_302600_NS18transform_iteratorI9row_indexNS9_17counting_iteratorImNS9_11use_defaultESD_SD_EESD_SD_EENS9_6detail15normal_iteratorINS9_10device_ptrIiEEEESK_iNS9_4plusIvEENS9_8equal_toIvEEiEE10hipError_tPvRmT2_T3_T4_T5_mT6_T7_P12ihipStream_tbENKUlT_T0_E_clISt17integral_constantIbLb1EES15_EEDaS10_S11_EUlS10_E_NS1_11comp_targetILNS1_3genE10ELNS1_11target_archE1200ELNS1_3gpuE4ELNS1_3repE0EEENS1_30default_config_static_selectorELNS0_4arch9wavefront6targetE1EEEvT1_ ; -- Begin function _ZN7rocprim17ROCPRIM_400000_NS6detail17trampoline_kernelINS0_14default_configENS1_27scan_by_key_config_selectorImiEEZZNS1_16scan_by_key_implILNS1_25lookback_scan_determinismE0ELb0ES3_N6thrust23THRUST_200600_302600_NS18transform_iteratorI9row_indexNS9_17counting_iteratorImNS9_11use_defaultESD_SD_EESD_SD_EENS9_6detail15normal_iteratorINS9_10device_ptrIiEEEESK_iNS9_4plusIvEENS9_8equal_toIvEEiEE10hipError_tPvRmT2_T3_T4_T5_mT6_T7_P12ihipStream_tbENKUlT_T0_E_clISt17integral_constantIbLb1EES15_EEDaS10_S11_EUlS10_E_NS1_11comp_targetILNS1_3genE10ELNS1_11target_archE1200ELNS1_3gpuE4ELNS1_3repE0EEENS1_30default_config_static_selectorELNS0_4arch9wavefront6targetE1EEEvT1_
	.globl	_ZN7rocprim17ROCPRIM_400000_NS6detail17trampoline_kernelINS0_14default_configENS1_27scan_by_key_config_selectorImiEEZZNS1_16scan_by_key_implILNS1_25lookback_scan_determinismE0ELb0ES3_N6thrust23THRUST_200600_302600_NS18transform_iteratorI9row_indexNS9_17counting_iteratorImNS9_11use_defaultESD_SD_EESD_SD_EENS9_6detail15normal_iteratorINS9_10device_ptrIiEEEESK_iNS9_4plusIvEENS9_8equal_toIvEEiEE10hipError_tPvRmT2_T3_T4_T5_mT6_T7_P12ihipStream_tbENKUlT_T0_E_clISt17integral_constantIbLb1EES15_EEDaS10_S11_EUlS10_E_NS1_11comp_targetILNS1_3genE10ELNS1_11target_archE1200ELNS1_3gpuE4ELNS1_3repE0EEENS1_30default_config_static_selectorELNS0_4arch9wavefront6targetE1EEEvT1_
	.p2align	8
	.type	_ZN7rocprim17ROCPRIM_400000_NS6detail17trampoline_kernelINS0_14default_configENS1_27scan_by_key_config_selectorImiEEZZNS1_16scan_by_key_implILNS1_25lookback_scan_determinismE0ELb0ES3_N6thrust23THRUST_200600_302600_NS18transform_iteratorI9row_indexNS9_17counting_iteratorImNS9_11use_defaultESD_SD_EESD_SD_EENS9_6detail15normal_iteratorINS9_10device_ptrIiEEEESK_iNS9_4plusIvEENS9_8equal_toIvEEiEE10hipError_tPvRmT2_T3_T4_T5_mT6_T7_P12ihipStream_tbENKUlT_T0_E_clISt17integral_constantIbLb1EES15_EEDaS10_S11_EUlS10_E_NS1_11comp_targetILNS1_3genE10ELNS1_11target_archE1200ELNS1_3gpuE4ELNS1_3repE0EEENS1_30default_config_static_selectorELNS0_4arch9wavefront6targetE1EEEvT1_,@function
_ZN7rocprim17ROCPRIM_400000_NS6detail17trampoline_kernelINS0_14default_configENS1_27scan_by_key_config_selectorImiEEZZNS1_16scan_by_key_implILNS1_25lookback_scan_determinismE0ELb0ES3_N6thrust23THRUST_200600_302600_NS18transform_iteratorI9row_indexNS9_17counting_iteratorImNS9_11use_defaultESD_SD_EESD_SD_EENS9_6detail15normal_iteratorINS9_10device_ptrIiEEEESK_iNS9_4plusIvEENS9_8equal_toIvEEiEE10hipError_tPvRmT2_T3_T4_T5_mT6_T7_P12ihipStream_tbENKUlT_T0_E_clISt17integral_constantIbLb1EES15_EEDaS10_S11_EUlS10_E_NS1_11comp_targetILNS1_3genE10ELNS1_11target_archE1200ELNS1_3gpuE4ELNS1_3repE0EEENS1_30default_config_static_selectorELNS0_4arch9wavefront6targetE1EEEvT1_: ; @_ZN7rocprim17ROCPRIM_400000_NS6detail17trampoline_kernelINS0_14default_configENS1_27scan_by_key_config_selectorImiEEZZNS1_16scan_by_key_implILNS1_25lookback_scan_determinismE0ELb0ES3_N6thrust23THRUST_200600_302600_NS18transform_iteratorI9row_indexNS9_17counting_iteratorImNS9_11use_defaultESD_SD_EESD_SD_EENS9_6detail15normal_iteratorINS9_10device_ptrIiEEEESK_iNS9_4plusIvEENS9_8equal_toIvEEiEE10hipError_tPvRmT2_T3_T4_T5_mT6_T7_P12ihipStream_tbENKUlT_T0_E_clISt17integral_constantIbLb1EES15_EEDaS10_S11_EUlS10_E_NS1_11comp_targetILNS1_3genE10ELNS1_11target_archE1200ELNS1_3gpuE4ELNS1_3repE0EEENS1_30default_config_static_selectorELNS0_4arch9wavefront6targetE1EEEvT1_
; %bb.0:
	.section	.rodata,"a",@progbits
	.p2align	6, 0x0
	.amdhsa_kernel _ZN7rocprim17ROCPRIM_400000_NS6detail17trampoline_kernelINS0_14default_configENS1_27scan_by_key_config_selectorImiEEZZNS1_16scan_by_key_implILNS1_25lookback_scan_determinismE0ELb0ES3_N6thrust23THRUST_200600_302600_NS18transform_iteratorI9row_indexNS9_17counting_iteratorImNS9_11use_defaultESD_SD_EESD_SD_EENS9_6detail15normal_iteratorINS9_10device_ptrIiEEEESK_iNS9_4plusIvEENS9_8equal_toIvEEiEE10hipError_tPvRmT2_T3_T4_T5_mT6_T7_P12ihipStream_tbENKUlT_T0_E_clISt17integral_constantIbLb1EES15_EEDaS10_S11_EUlS10_E_NS1_11comp_targetILNS1_3genE10ELNS1_11target_archE1200ELNS1_3gpuE4ELNS1_3repE0EEENS1_30default_config_static_selectorELNS0_4arch9wavefront6targetE1EEEvT1_
		.amdhsa_group_segment_fixed_size 0
		.amdhsa_private_segment_fixed_size 0
		.amdhsa_kernarg_size 120
		.amdhsa_user_sgpr_count 6
		.amdhsa_user_sgpr_private_segment_buffer 1
		.amdhsa_user_sgpr_dispatch_ptr 0
		.amdhsa_user_sgpr_queue_ptr 0
		.amdhsa_user_sgpr_kernarg_segment_ptr 1
		.amdhsa_user_sgpr_dispatch_id 0
		.amdhsa_user_sgpr_flat_scratch_init 0
		.amdhsa_user_sgpr_private_segment_size 0
		.amdhsa_uses_dynamic_stack 0
		.amdhsa_system_sgpr_private_segment_wavefront_offset 0
		.amdhsa_system_sgpr_workgroup_id_x 1
		.amdhsa_system_sgpr_workgroup_id_y 0
		.amdhsa_system_sgpr_workgroup_id_z 0
		.amdhsa_system_sgpr_workgroup_info 0
		.amdhsa_system_vgpr_workitem_id 0
		.amdhsa_next_free_vgpr 1
		.amdhsa_next_free_sgpr 0
		.amdhsa_reserve_vcc 0
		.amdhsa_reserve_flat_scratch 0
		.amdhsa_float_round_mode_32 0
		.amdhsa_float_round_mode_16_64 0
		.amdhsa_float_denorm_mode_32 3
		.amdhsa_float_denorm_mode_16_64 3
		.amdhsa_dx10_clamp 1
		.amdhsa_ieee_mode 1
		.amdhsa_fp16_overflow 0
		.amdhsa_exception_fp_ieee_invalid_op 0
		.amdhsa_exception_fp_denorm_src 0
		.amdhsa_exception_fp_ieee_div_zero 0
		.amdhsa_exception_fp_ieee_overflow 0
		.amdhsa_exception_fp_ieee_underflow 0
		.amdhsa_exception_fp_ieee_inexact 0
		.amdhsa_exception_int_div_zero 0
	.end_amdhsa_kernel
	.section	.text._ZN7rocprim17ROCPRIM_400000_NS6detail17trampoline_kernelINS0_14default_configENS1_27scan_by_key_config_selectorImiEEZZNS1_16scan_by_key_implILNS1_25lookback_scan_determinismE0ELb0ES3_N6thrust23THRUST_200600_302600_NS18transform_iteratorI9row_indexNS9_17counting_iteratorImNS9_11use_defaultESD_SD_EESD_SD_EENS9_6detail15normal_iteratorINS9_10device_ptrIiEEEESK_iNS9_4plusIvEENS9_8equal_toIvEEiEE10hipError_tPvRmT2_T3_T4_T5_mT6_T7_P12ihipStream_tbENKUlT_T0_E_clISt17integral_constantIbLb1EES15_EEDaS10_S11_EUlS10_E_NS1_11comp_targetILNS1_3genE10ELNS1_11target_archE1200ELNS1_3gpuE4ELNS1_3repE0EEENS1_30default_config_static_selectorELNS0_4arch9wavefront6targetE1EEEvT1_,"axG",@progbits,_ZN7rocprim17ROCPRIM_400000_NS6detail17trampoline_kernelINS0_14default_configENS1_27scan_by_key_config_selectorImiEEZZNS1_16scan_by_key_implILNS1_25lookback_scan_determinismE0ELb0ES3_N6thrust23THRUST_200600_302600_NS18transform_iteratorI9row_indexNS9_17counting_iteratorImNS9_11use_defaultESD_SD_EESD_SD_EENS9_6detail15normal_iteratorINS9_10device_ptrIiEEEESK_iNS9_4plusIvEENS9_8equal_toIvEEiEE10hipError_tPvRmT2_T3_T4_T5_mT6_T7_P12ihipStream_tbENKUlT_T0_E_clISt17integral_constantIbLb1EES15_EEDaS10_S11_EUlS10_E_NS1_11comp_targetILNS1_3genE10ELNS1_11target_archE1200ELNS1_3gpuE4ELNS1_3repE0EEENS1_30default_config_static_selectorELNS0_4arch9wavefront6targetE1EEEvT1_,comdat
.Lfunc_end20:
	.size	_ZN7rocprim17ROCPRIM_400000_NS6detail17trampoline_kernelINS0_14default_configENS1_27scan_by_key_config_selectorImiEEZZNS1_16scan_by_key_implILNS1_25lookback_scan_determinismE0ELb0ES3_N6thrust23THRUST_200600_302600_NS18transform_iteratorI9row_indexNS9_17counting_iteratorImNS9_11use_defaultESD_SD_EESD_SD_EENS9_6detail15normal_iteratorINS9_10device_ptrIiEEEESK_iNS9_4plusIvEENS9_8equal_toIvEEiEE10hipError_tPvRmT2_T3_T4_T5_mT6_T7_P12ihipStream_tbENKUlT_T0_E_clISt17integral_constantIbLb1EES15_EEDaS10_S11_EUlS10_E_NS1_11comp_targetILNS1_3genE10ELNS1_11target_archE1200ELNS1_3gpuE4ELNS1_3repE0EEENS1_30default_config_static_selectorELNS0_4arch9wavefront6targetE1EEEvT1_, .Lfunc_end20-_ZN7rocprim17ROCPRIM_400000_NS6detail17trampoline_kernelINS0_14default_configENS1_27scan_by_key_config_selectorImiEEZZNS1_16scan_by_key_implILNS1_25lookback_scan_determinismE0ELb0ES3_N6thrust23THRUST_200600_302600_NS18transform_iteratorI9row_indexNS9_17counting_iteratorImNS9_11use_defaultESD_SD_EESD_SD_EENS9_6detail15normal_iteratorINS9_10device_ptrIiEEEESK_iNS9_4plusIvEENS9_8equal_toIvEEiEE10hipError_tPvRmT2_T3_T4_T5_mT6_T7_P12ihipStream_tbENKUlT_T0_E_clISt17integral_constantIbLb1EES15_EEDaS10_S11_EUlS10_E_NS1_11comp_targetILNS1_3genE10ELNS1_11target_archE1200ELNS1_3gpuE4ELNS1_3repE0EEENS1_30default_config_static_selectorELNS0_4arch9wavefront6targetE1EEEvT1_
                                        ; -- End function
	.set _ZN7rocprim17ROCPRIM_400000_NS6detail17trampoline_kernelINS0_14default_configENS1_27scan_by_key_config_selectorImiEEZZNS1_16scan_by_key_implILNS1_25lookback_scan_determinismE0ELb0ES3_N6thrust23THRUST_200600_302600_NS18transform_iteratorI9row_indexNS9_17counting_iteratorImNS9_11use_defaultESD_SD_EESD_SD_EENS9_6detail15normal_iteratorINS9_10device_ptrIiEEEESK_iNS9_4plusIvEENS9_8equal_toIvEEiEE10hipError_tPvRmT2_T3_T4_T5_mT6_T7_P12ihipStream_tbENKUlT_T0_E_clISt17integral_constantIbLb1EES15_EEDaS10_S11_EUlS10_E_NS1_11comp_targetILNS1_3genE10ELNS1_11target_archE1200ELNS1_3gpuE4ELNS1_3repE0EEENS1_30default_config_static_selectorELNS0_4arch9wavefront6targetE1EEEvT1_.num_vgpr, 0
	.set _ZN7rocprim17ROCPRIM_400000_NS6detail17trampoline_kernelINS0_14default_configENS1_27scan_by_key_config_selectorImiEEZZNS1_16scan_by_key_implILNS1_25lookback_scan_determinismE0ELb0ES3_N6thrust23THRUST_200600_302600_NS18transform_iteratorI9row_indexNS9_17counting_iteratorImNS9_11use_defaultESD_SD_EESD_SD_EENS9_6detail15normal_iteratorINS9_10device_ptrIiEEEESK_iNS9_4plusIvEENS9_8equal_toIvEEiEE10hipError_tPvRmT2_T3_T4_T5_mT6_T7_P12ihipStream_tbENKUlT_T0_E_clISt17integral_constantIbLb1EES15_EEDaS10_S11_EUlS10_E_NS1_11comp_targetILNS1_3genE10ELNS1_11target_archE1200ELNS1_3gpuE4ELNS1_3repE0EEENS1_30default_config_static_selectorELNS0_4arch9wavefront6targetE1EEEvT1_.num_agpr, 0
	.set _ZN7rocprim17ROCPRIM_400000_NS6detail17trampoline_kernelINS0_14default_configENS1_27scan_by_key_config_selectorImiEEZZNS1_16scan_by_key_implILNS1_25lookback_scan_determinismE0ELb0ES3_N6thrust23THRUST_200600_302600_NS18transform_iteratorI9row_indexNS9_17counting_iteratorImNS9_11use_defaultESD_SD_EESD_SD_EENS9_6detail15normal_iteratorINS9_10device_ptrIiEEEESK_iNS9_4plusIvEENS9_8equal_toIvEEiEE10hipError_tPvRmT2_T3_T4_T5_mT6_T7_P12ihipStream_tbENKUlT_T0_E_clISt17integral_constantIbLb1EES15_EEDaS10_S11_EUlS10_E_NS1_11comp_targetILNS1_3genE10ELNS1_11target_archE1200ELNS1_3gpuE4ELNS1_3repE0EEENS1_30default_config_static_selectorELNS0_4arch9wavefront6targetE1EEEvT1_.numbered_sgpr, 0
	.set _ZN7rocprim17ROCPRIM_400000_NS6detail17trampoline_kernelINS0_14default_configENS1_27scan_by_key_config_selectorImiEEZZNS1_16scan_by_key_implILNS1_25lookback_scan_determinismE0ELb0ES3_N6thrust23THRUST_200600_302600_NS18transform_iteratorI9row_indexNS9_17counting_iteratorImNS9_11use_defaultESD_SD_EESD_SD_EENS9_6detail15normal_iteratorINS9_10device_ptrIiEEEESK_iNS9_4plusIvEENS9_8equal_toIvEEiEE10hipError_tPvRmT2_T3_T4_T5_mT6_T7_P12ihipStream_tbENKUlT_T0_E_clISt17integral_constantIbLb1EES15_EEDaS10_S11_EUlS10_E_NS1_11comp_targetILNS1_3genE10ELNS1_11target_archE1200ELNS1_3gpuE4ELNS1_3repE0EEENS1_30default_config_static_selectorELNS0_4arch9wavefront6targetE1EEEvT1_.num_named_barrier, 0
	.set _ZN7rocprim17ROCPRIM_400000_NS6detail17trampoline_kernelINS0_14default_configENS1_27scan_by_key_config_selectorImiEEZZNS1_16scan_by_key_implILNS1_25lookback_scan_determinismE0ELb0ES3_N6thrust23THRUST_200600_302600_NS18transform_iteratorI9row_indexNS9_17counting_iteratorImNS9_11use_defaultESD_SD_EESD_SD_EENS9_6detail15normal_iteratorINS9_10device_ptrIiEEEESK_iNS9_4plusIvEENS9_8equal_toIvEEiEE10hipError_tPvRmT2_T3_T4_T5_mT6_T7_P12ihipStream_tbENKUlT_T0_E_clISt17integral_constantIbLb1EES15_EEDaS10_S11_EUlS10_E_NS1_11comp_targetILNS1_3genE10ELNS1_11target_archE1200ELNS1_3gpuE4ELNS1_3repE0EEENS1_30default_config_static_selectorELNS0_4arch9wavefront6targetE1EEEvT1_.private_seg_size, 0
	.set _ZN7rocprim17ROCPRIM_400000_NS6detail17trampoline_kernelINS0_14default_configENS1_27scan_by_key_config_selectorImiEEZZNS1_16scan_by_key_implILNS1_25lookback_scan_determinismE0ELb0ES3_N6thrust23THRUST_200600_302600_NS18transform_iteratorI9row_indexNS9_17counting_iteratorImNS9_11use_defaultESD_SD_EESD_SD_EENS9_6detail15normal_iteratorINS9_10device_ptrIiEEEESK_iNS9_4plusIvEENS9_8equal_toIvEEiEE10hipError_tPvRmT2_T3_T4_T5_mT6_T7_P12ihipStream_tbENKUlT_T0_E_clISt17integral_constantIbLb1EES15_EEDaS10_S11_EUlS10_E_NS1_11comp_targetILNS1_3genE10ELNS1_11target_archE1200ELNS1_3gpuE4ELNS1_3repE0EEENS1_30default_config_static_selectorELNS0_4arch9wavefront6targetE1EEEvT1_.uses_vcc, 0
	.set _ZN7rocprim17ROCPRIM_400000_NS6detail17trampoline_kernelINS0_14default_configENS1_27scan_by_key_config_selectorImiEEZZNS1_16scan_by_key_implILNS1_25lookback_scan_determinismE0ELb0ES3_N6thrust23THRUST_200600_302600_NS18transform_iteratorI9row_indexNS9_17counting_iteratorImNS9_11use_defaultESD_SD_EESD_SD_EENS9_6detail15normal_iteratorINS9_10device_ptrIiEEEESK_iNS9_4plusIvEENS9_8equal_toIvEEiEE10hipError_tPvRmT2_T3_T4_T5_mT6_T7_P12ihipStream_tbENKUlT_T0_E_clISt17integral_constantIbLb1EES15_EEDaS10_S11_EUlS10_E_NS1_11comp_targetILNS1_3genE10ELNS1_11target_archE1200ELNS1_3gpuE4ELNS1_3repE0EEENS1_30default_config_static_selectorELNS0_4arch9wavefront6targetE1EEEvT1_.uses_flat_scratch, 0
	.set _ZN7rocprim17ROCPRIM_400000_NS6detail17trampoline_kernelINS0_14default_configENS1_27scan_by_key_config_selectorImiEEZZNS1_16scan_by_key_implILNS1_25lookback_scan_determinismE0ELb0ES3_N6thrust23THRUST_200600_302600_NS18transform_iteratorI9row_indexNS9_17counting_iteratorImNS9_11use_defaultESD_SD_EESD_SD_EENS9_6detail15normal_iteratorINS9_10device_ptrIiEEEESK_iNS9_4plusIvEENS9_8equal_toIvEEiEE10hipError_tPvRmT2_T3_T4_T5_mT6_T7_P12ihipStream_tbENKUlT_T0_E_clISt17integral_constantIbLb1EES15_EEDaS10_S11_EUlS10_E_NS1_11comp_targetILNS1_3genE10ELNS1_11target_archE1200ELNS1_3gpuE4ELNS1_3repE0EEENS1_30default_config_static_selectorELNS0_4arch9wavefront6targetE1EEEvT1_.has_dyn_sized_stack, 0
	.set _ZN7rocprim17ROCPRIM_400000_NS6detail17trampoline_kernelINS0_14default_configENS1_27scan_by_key_config_selectorImiEEZZNS1_16scan_by_key_implILNS1_25lookback_scan_determinismE0ELb0ES3_N6thrust23THRUST_200600_302600_NS18transform_iteratorI9row_indexNS9_17counting_iteratorImNS9_11use_defaultESD_SD_EESD_SD_EENS9_6detail15normal_iteratorINS9_10device_ptrIiEEEESK_iNS9_4plusIvEENS9_8equal_toIvEEiEE10hipError_tPvRmT2_T3_T4_T5_mT6_T7_P12ihipStream_tbENKUlT_T0_E_clISt17integral_constantIbLb1EES15_EEDaS10_S11_EUlS10_E_NS1_11comp_targetILNS1_3genE10ELNS1_11target_archE1200ELNS1_3gpuE4ELNS1_3repE0EEENS1_30default_config_static_selectorELNS0_4arch9wavefront6targetE1EEEvT1_.has_recursion, 0
	.set _ZN7rocprim17ROCPRIM_400000_NS6detail17trampoline_kernelINS0_14default_configENS1_27scan_by_key_config_selectorImiEEZZNS1_16scan_by_key_implILNS1_25lookback_scan_determinismE0ELb0ES3_N6thrust23THRUST_200600_302600_NS18transform_iteratorI9row_indexNS9_17counting_iteratorImNS9_11use_defaultESD_SD_EESD_SD_EENS9_6detail15normal_iteratorINS9_10device_ptrIiEEEESK_iNS9_4plusIvEENS9_8equal_toIvEEiEE10hipError_tPvRmT2_T3_T4_T5_mT6_T7_P12ihipStream_tbENKUlT_T0_E_clISt17integral_constantIbLb1EES15_EEDaS10_S11_EUlS10_E_NS1_11comp_targetILNS1_3genE10ELNS1_11target_archE1200ELNS1_3gpuE4ELNS1_3repE0EEENS1_30default_config_static_selectorELNS0_4arch9wavefront6targetE1EEEvT1_.has_indirect_call, 0
	.section	.AMDGPU.csdata,"",@progbits
; Kernel info:
; codeLenInByte = 0
; TotalNumSgprs: 4
; NumVgprs: 0
; ScratchSize: 0
; MemoryBound: 0
; FloatMode: 240
; IeeeMode: 1
; LDSByteSize: 0 bytes/workgroup (compile time only)
; SGPRBlocks: 0
; VGPRBlocks: 0
; NumSGPRsForWavesPerEU: 4
; NumVGPRsForWavesPerEU: 1
; Occupancy: 10
; WaveLimiterHint : 0
; COMPUTE_PGM_RSRC2:SCRATCH_EN: 0
; COMPUTE_PGM_RSRC2:USER_SGPR: 6
; COMPUTE_PGM_RSRC2:TRAP_HANDLER: 0
; COMPUTE_PGM_RSRC2:TGID_X_EN: 1
; COMPUTE_PGM_RSRC2:TGID_Y_EN: 0
; COMPUTE_PGM_RSRC2:TGID_Z_EN: 0
; COMPUTE_PGM_RSRC2:TIDIG_COMP_CNT: 0
	.section	.text._ZN7rocprim17ROCPRIM_400000_NS6detail17trampoline_kernelINS0_14default_configENS1_27scan_by_key_config_selectorImiEEZZNS1_16scan_by_key_implILNS1_25lookback_scan_determinismE0ELb0ES3_N6thrust23THRUST_200600_302600_NS18transform_iteratorI9row_indexNS9_17counting_iteratorImNS9_11use_defaultESD_SD_EESD_SD_EENS9_6detail15normal_iteratorINS9_10device_ptrIiEEEESK_iNS9_4plusIvEENS9_8equal_toIvEEiEE10hipError_tPvRmT2_T3_T4_T5_mT6_T7_P12ihipStream_tbENKUlT_T0_E_clISt17integral_constantIbLb1EES15_EEDaS10_S11_EUlS10_E_NS1_11comp_targetILNS1_3genE9ELNS1_11target_archE1100ELNS1_3gpuE3ELNS1_3repE0EEENS1_30default_config_static_selectorELNS0_4arch9wavefront6targetE1EEEvT1_,"axG",@progbits,_ZN7rocprim17ROCPRIM_400000_NS6detail17trampoline_kernelINS0_14default_configENS1_27scan_by_key_config_selectorImiEEZZNS1_16scan_by_key_implILNS1_25lookback_scan_determinismE0ELb0ES3_N6thrust23THRUST_200600_302600_NS18transform_iteratorI9row_indexNS9_17counting_iteratorImNS9_11use_defaultESD_SD_EESD_SD_EENS9_6detail15normal_iteratorINS9_10device_ptrIiEEEESK_iNS9_4plusIvEENS9_8equal_toIvEEiEE10hipError_tPvRmT2_T3_T4_T5_mT6_T7_P12ihipStream_tbENKUlT_T0_E_clISt17integral_constantIbLb1EES15_EEDaS10_S11_EUlS10_E_NS1_11comp_targetILNS1_3genE9ELNS1_11target_archE1100ELNS1_3gpuE3ELNS1_3repE0EEENS1_30default_config_static_selectorELNS0_4arch9wavefront6targetE1EEEvT1_,comdat
	.protected	_ZN7rocprim17ROCPRIM_400000_NS6detail17trampoline_kernelINS0_14default_configENS1_27scan_by_key_config_selectorImiEEZZNS1_16scan_by_key_implILNS1_25lookback_scan_determinismE0ELb0ES3_N6thrust23THRUST_200600_302600_NS18transform_iteratorI9row_indexNS9_17counting_iteratorImNS9_11use_defaultESD_SD_EESD_SD_EENS9_6detail15normal_iteratorINS9_10device_ptrIiEEEESK_iNS9_4plusIvEENS9_8equal_toIvEEiEE10hipError_tPvRmT2_T3_T4_T5_mT6_T7_P12ihipStream_tbENKUlT_T0_E_clISt17integral_constantIbLb1EES15_EEDaS10_S11_EUlS10_E_NS1_11comp_targetILNS1_3genE9ELNS1_11target_archE1100ELNS1_3gpuE3ELNS1_3repE0EEENS1_30default_config_static_selectorELNS0_4arch9wavefront6targetE1EEEvT1_ ; -- Begin function _ZN7rocprim17ROCPRIM_400000_NS6detail17trampoline_kernelINS0_14default_configENS1_27scan_by_key_config_selectorImiEEZZNS1_16scan_by_key_implILNS1_25lookback_scan_determinismE0ELb0ES3_N6thrust23THRUST_200600_302600_NS18transform_iteratorI9row_indexNS9_17counting_iteratorImNS9_11use_defaultESD_SD_EESD_SD_EENS9_6detail15normal_iteratorINS9_10device_ptrIiEEEESK_iNS9_4plusIvEENS9_8equal_toIvEEiEE10hipError_tPvRmT2_T3_T4_T5_mT6_T7_P12ihipStream_tbENKUlT_T0_E_clISt17integral_constantIbLb1EES15_EEDaS10_S11_EUlS10_E_NS1_11comp_targetILNS1_3genE9ELNS1_11target_archE1100ELNS1_3gpuE3ELNS1_3repE0EEENS1_30default_config_static_selectorELNS0_4arch9wavefront6targetE1EEEvT1_
	.globl	_ZN7rocprim17ROCPRIM_400000_NS6detail17trampoline_kernelINS0_14default_configENS1_27scan_by_key_config_selectorImiEEZZNS1_16scan_by_key_implILNS1_25lookback_scan_determinismE0ELb0ES3_N6thrust23THRUST_200600_302600_NS18transform_iteratorI9row_indexNS9_17counting_iteratorImNS9_11use_defaultESD_SD_EESD_SD_EENS9_6detail15normal_iteratorINS9_10device_ptrIiEEEESK_iNS9_4plusIvEENS9_8equal_toIvEEiEE10hipError_tPvRmT2_T3_T4_T5_mT6_T7_P12ihipStream_tbENKUlT_T0_E_clISt17integral_constantIbLb1EES15_EEDaS10_S11_EUlS10_E_NS1_11comp_targetILNS1_3genE9ELNS1_11target_archE1100ELNS1_3gpuE3ELNS1_3repE0EEENS1_30default_config_static_selectorELNS0_4arch9wavefront6targetE1EEEvT1_
	.p2align	8
	.type	_ZN7rocprim17ROCPRIM_400000_NS6detail17trampoline_kernelINS0_14default_configENS1_27scan_by_key_config_selectorImiEEZZNS1_16scan_by_key_implILNS1_25lookback_scan_determinismE0ELb0ES3_N6thrust23THRUST_200600_302600_NS18transform_iteratorI9row_indexNS9_17counting_iteratorImNS9_11use_defaultESD_SD_EESD_SD_EENS9_6detail15normal_iteratorINS9_10device_ptrIiEEEESK_iNS9_4plusIvEENS9_8equal_toIvEEiEE10hipError_tPvRmT2_T3_T4_T5_mT6_T7_P12ihipStream_tbENKUlT_T0_E_clISt17integral_constantIbLb1EES15_EEDaS10_S11_EUlS10_E_NS1_11comp_targetILNS1_3genE9ELNS1_11target_archE1100ELNS1_3gpuE3ELNS1_3repE0EEENS1_30default_config_static_selectorELNS0_4arch9wavefront6targetE1EEEvT1_,@function
_ZN7rocprim17ROCPRIM_400000_NS6detail17trampoline_kernelINS0_14default_configENS1_27scan_by_key_config_selectorImiEEZZNS1_16scan_by_key_implILNS1_25lookback_scan_determinismE0ELb0ES3_N6thrust23THRUST_200600_302600_NS18transform_iteratorI9row_indexNS9_17counting_iteratorImNS9_11use_defaultESD_SD_EESD_SD_EENS9_6detail15normal_iteratorINS9_10device_ptrIiEEEESK_iNS9_4plusIvEENS9_8equal_toIvEEiEE10hipError_tPvRmT2_T3_T4_T5_mT6_T7_P12ihipStream_tbENKUlT_T0_E_clISt17integral_constantIbLb1EES15_EEDaS10_S11_EUlS10_E_NS1_11comp_targetILNS1_3genE9ELNS1_11target_archE1100ELNS1_3gpuE3ELNS1_3repE0EEENS1_30default_config_static_selectorELNS0_4arch9wavefront6targetE1EEEvT1_: ; @_ZN7rocprim17ROCPRIM_400000_NS6detail17trampoline_kernelINS0_14default_configENS1_27scan_by_key_config_selectorImiEEZZNS1_16scan_by_key_implILNS1_25lookback_scan_determinismE0ELb0ES3_N6thrust23THRUST_200600_302600_NS18transform_iteratorI9row_indexNS9_17counting_iteratorImNS9_11use_defaultESD_SD_EESD_SD_EENS9_6detail15normal_iteratorINS9_10device_ptrIiEEEESK_iNS9_4plusIvEENS9_8equal_toIvEEiEE10hipError_tPvRmT2_T3_T4_T5_mT6_T7_P12ihipStream_tbENKUlT_T0_E_clISt17integral_constantIbLb1EES15_EEDaS10_S11_EUlS10_E_NS1_11comp_targetILNS1_3genE9ELNS1_11target_archE1100ELNS1_3gpuE3ELNS1_3repE0EEENS1_30default_config_static_selectorELNS0_4arch9wavefront6targetE1EEEvT1_
; %bb.0:
	.section	.rodata,"a",@progbits
	.p2align	6, 0x0
	.amdhsa_kernel _ZN7rocprim17ROCPRIM_400000_NS6detail17trampoline_kernelINS0_14default_configENS1_27scan_by_key_config_selectorImiEEZZNS1_16scan_by_key_implILNS1_25lookback_scan_determinismE0ELb0ES3_N6thrust23THRUST_200600_302600_NS18transform_iteratorI9row_indexNS9_17counting_iteratorImNS9_11use_defaultESD_SD_EESD_SD_EENS9_6detail15normal_iteratorINS9_10device_ptrIiEEEESK_iNS9_4plusIvEENS9_8equal_toIvEEiEE10hipError_tPvRmT2_T3_T4_T5_mT6_T7_P12ihipStream_tbENKUlT_T0_E_clISt17integral_constantIbLb1EES15_EEDaS10_S11_EUlS10_E_NS1_11comp_targetILNS1_3genE9ELNS1_11target_archE1100ELNS1_3gpuE3ELNS1_3repE0EEENS1_30default_config_static_selectorELNS0_4arch9wavefront6targetE1EEEvT1_
		.amdhsa_group_segment_fixed_size 0
		.amdhsa_private_segment_fixed_size 0
		.amdhsa_kernarg_size 120
		.amdhsa_user_sgpr_count 6
		.amdhsa_user_sgpr_private_segment_buffer 1
		.amdhsa_user_sgpr_dispatch_ptr 0
		.amdhsa_user_sgpr_queue_ptr 0
		.amdhsa_user_sgpr_kernarg_segment_ptr 1
		.amdhsa_user_sgpr_dispatch_id 0
		.amdhsa_user_sgpr_flat_scratch_init 0
		.amdhsa_user_sgpr_private_segment_size 0
		.amdhsa_uses_dynamic_stack 0
		.amdhsa_system_sgpr_private_segment_wavefront_offset 0
		.amdhsa_system_sgpr_workgroup_id_x 1
		.amdhsa_system_sgpr_workgroup_id_y 0
		.amdhsa_system_sgpr_workgroup_id_z 0
		.amdhsa_system_sgpr_workgroup_info 0
		.amdhsa_system_vgpr_workitem_id 0
		.amdhsa_next_free_vgpr 1
		.amdhsa_next_free_sgpr 0
		.amdhsa_reserve_vcc 0
		.amdhsa_reserve_flat_scratch 0
		.amdhsa_float_round_mode_32 0
		.amdhsa_float_round_mode_16_64 0
		.amdhsa_float_denorm_mode_32 3
		.amdhsa_float_denorm_mode_16_64 3
		.amdhsa_dx10_clamp 1
		.amdhsa_ieee_mode 1
		.amdhsa_fp16_overflow 0
		.amdhsa_exception_fp_ieee_invalid_op 0
		.amdhsa_exception_fp_denorm_src 0
		.amdhsa_exception_fp_ieee_div_zero 0
		.amdhsa_exception_fp_ieee_overflow 0
		.amdhsa_exception_fp_ieee_underflow 0
		.amdhsa_exception_fp_ieee_inexact 0
		.amdhsa_exception_int_div_zero 0
	.end_amdhsa_kernel
	.section	.text._ZN7rocprim17ROCPRIM_400000_NS6detail17trampoline_kernelINS0_14default_configENS1_27scan_by_key_config_selectorImiEEZZNS1_16scan_by_key_implILNS1_25lookback_scan_determinismE0ELb0ES3_N6thrust23THRUST_200600_302600_NS18transform_iteratorI9row_indexNS9_17counting_iteratorImNS9_11use_defaultESD_SD_EESD_SD_EENS9_6detail15normal_iteratorINS9_10device_ptrIiEEEESK_iNS9_4plusIvEENS9_8equal_toIvEEiEE10hipError_tPvRmT2_T3_T4_T5_mT6_T7_P12ihipStream_tbENKUlT_T0_E_clISt17integral_constantIbLb1EES15_EEDaS10_S11_EUlS10_E_NS1_11comp_targetILNS1_3genE9ELNS1_11target_archE1100ELNS1_3gpuE3ELNS1_3repE0EEENS1_30default_config_static_selectorELNS0_4arch9wavefront6targetE1EEEvT1_,"axG",@progbits,_ZN7rocprim17ROCPRIM_400000_NS6detail17trampoline_kernelINS0_14default_configENS1_27scan_by_key_config_selectorImiEEZZNS1_16scan_by_key_implILNS1_25lookback_scan_determinismE0ELb0ES3_N6thrust23THRUST_200600_302600_NS18transform_iteratorI9row_indexNS9_17counting_iteratorImNS9_11use_defaultESD_SD_EESD_SD_EENS9_6detail15normal_iteratorINS9_10device_ptrIiEEEESK_iNS9_4plusIvEENS9_8equal_toIvEEiEE10hipError_tPvRmT2_T3_T4_T5_mT6_T7_P12ihipStream_tbENKUlT_T0_E_clISt17integral_constantIbLb1EES15_EEDaS10_S11_EUlS10_E_NS1_11comp_targetILNS1_3genE9ELNS1_11target_archE1100ELNS1_3gpuE3ELNS1_3repE0EEENS1_30default_config_static_selectorELNS0_4arch9wavefront6targetE1EEEvT1_,comdat
.Lfunc_end21:
	.size	_ZN7rocprim17ROCPRIM_400000_NS6detail17trampoline_kernelINS0_14default_configENS1_27scan_by_key_config_selectorImiEEZZNS1_16scan_by_key_implILNS1_25lookback_scan_determinismE0ELb0ES3_N6thrust23THRUST_200600_302600_NS18transform_iteratorI9row_indexNS9_17counting_iteratorImNS9_11use_defaultESD_SD_EESD_SD_EENS9_6detail15normal_iteratorINS9_10device_ptrIiEEEESK_iNS9_4plusIvEENS9_8equal_toIvEEiEE10hipError_tPvRmT2_T3_T4_T5_mT6_T7_P12ihipStream_tbENKUlT_T0_E_clISt17integral_constantIbLb1EES15_EEDaS10_S11_EUlS10_E_NS1_11comp_targetILNS1_3genE9ELNS1_11target_archE1100ELNS1_3gpuE3ELNS1_3repE0EEENS1_30default_config_static_selectorELNS0_4arch9wavefront6targetE1EEEvT1_, .Lfunc_end21-_ZN7rocprim17ROCPRIM_400000_NS6detail17trampoline_kernelINS0_14default_configENS1_27scan_by_key_config_selectorImiEEZZNS1_16scan_by_key_implILNS1_25lookback_scan_determinismE0ELb0ES3_N6thrust23THRUST_200600_302600_NS18transform_iteratorI9row_indexNS9_17counting_iteratorImNS9_11use_defaultESD_SD_EESD_SD_EENS9_6detail15normal_iteratorINS9_10device_ptrIiEEEESK_iNS9_4plusIvEENS9_8equal_toIvEEiEE10hipError_tPvRmT2_T3_T4_T5_mT6_T7_P12ihipStream_tbENKUlT_T0_E_clISt17integral_constantIbLb1EES15_EEDaS10_S11_EUlS10_E_NS1_11comp_targetILNS1_3genE9ELNS1_11target_archE1100ELNS1_3gpuE3ELNS1_3repE0EEENS1_30default_config_static_selectorELNS0_4arch9wavefront6targetE1EEEvT1_
                                        ; -- End function
	.set _ZN7rocprim17ROCPRIM_400000_NS6detail17trampoline_kernelINS0_14default_configENS1_27scan_by_key_config_selectorImiEEZZNS1_16scan_by_key_implILNS1_25lookback_scan_determinismE0ELb0ES3_N6thrust23THRUST_200600_302600_NS18transform_iteratorI9row_indexNS9_17counting_iteratorImNS9_11use_defaultESD_SD_EESD_SD_EENS9_6detail15normal_iteratorINS9_10device_ptrIiEEEESK_iNS9_4plusIvEENS9_8equal_toIvEEiEE10hipError_tPvRmT2_T3_T4_T5_mT6_T7_P12ihipStream_tbENKUlT_T0_E_clISt17integral_constantIbLb1EES15_EEDaS10_S11_EUlS10_E_NS1_11comp_targetILNS1_3genE9ELNS1_11target_archE1100ELNS1_3gpuE3ELNS1_3repE0EEENS1_30default_config_static_selectorELNS0_4arch9wavefront6targetE1EEEvT1_.num_vgpr, 0
	.set _ZN7rocprim17ROCPRIM_400000_NS6detail17trampoline_kernelINS0_14default_configENS1_27scan_by_key_config_selectorImiEEZZNS1_16scan_by_key_implILNS1_25lookback_scan_determinismE0ELb0ES3_N6thrust23THRUST_200600_302600_NS18transform_iteratorI9row_indexNS9_17counting_iteratorImNS9_11use_defaultESD_SD_EESD_SD_EENS9_6detail15normal_iteratorINS9_10device_ptrIiEEEESK_iNS9_4plusIvEENS9_8equal_toIvEEiEE10hipError_tPvRmT2_T3_T4_T5_mT6_T7_P12ihipStream_tbENKUlT_T0_E_clISt17integral_constantIbLb1EES15_EEDaS10_S11_EUlS10_E_NS1_11comp_targetILNS1_3genE9ELNS1_11target_archE1100ELNS1_3gpuE3ELNS1_3repE0EEENS1_30default_config_static_selectorELNS0_4arch9wavefront6targetE1EEEvT1_.num_agpr, 0
	.set _ZN7rocprim17ROCPRIM_400000_NS6detail17trampoline_kernelINS0_14default_configENS1_27scan_by_key_config_selectorImiEEZZNS1_16scan_by_key_implILNS1_25lookback_scan_determinismE0ELb0ES3_N6thrust23THRUST_200600_302600_NS18transform_iteratorI9row_indexNS9_17counting_iteratorImNS9_11use_defaultESD_SD_EESD_SD_EENS9_6detail15normal_iteratorINS9_10device_ptrIiEEEESK_iNS9_4plusIvEENS9_8equal_toIvEEiEE10hipError_tPvRmT2_T3_T4_T5_mT6_T7_P12ihipStream_tbENKUlT_T0_E_clISt17integral_constantIbLb1EES15_EEDaS10_S11_EUlS10_E_NS1_11comp_targetILNS1_3genE9ELNS1_11target_archE1100ELNS1_3gpuE3ELNS1_3repE0EEENS1_30default_config_static_selectorELNS0_4arch9wavefront6targetE1EEEvT1_.numbered_sgpr, 0
	.set _ZN7rocprim17ROCPRIM_400000_NS6detail17trampoline_kernelINS0_14default_configENS1_27scan_by_key_config_selectorImiEEZZNS1_16scan_by_key_implILNS1_25lookback_scan_determinismE0ELb0ES3_N6thrust23THRUST_200600_302600_NS18transform_iteratorI9row_indexNS9_17counting_iteratorImNS9_11use_defaultESD_SD_EESD_SD_EENS9_6detail15normal_iteratorINS9_10device_ptrIiEEEESK_iNS9_4plusIvEENS9_8equal_toIvEEiEE10hipError_tPvRmT2_T3_T4_T5_mT6_T7_P12ihipStream_tbENKUlT_T0_E_clISt17integral_constantIbLb1EES15_EEDaS10_S11_EUlS10_E_NS1_11comp_targetILNS1_3genE9ELNS1_11target_archE1100ELNS1_3gpuE3ELNS1_3repE0EEENS1_30default_config_static_selectorELNS0_4arch9wavefront6targetE1EEEvT1_.num_named_barrier, 0
	.set _ZN7rocprim17ROCPRIM_400000_NS6detail17trampoline_kernelINS0_14default_configENS1_27scan_by_key_config_selectorImiEEZZNS1_16scan_by_key_implILNS1_25lookback_scan_determinismE0ELb0ES3_N6thrust23THRUST_200600_302600_NS18transform_iteratorI9row_indexNS9_17counting_iteratorImNS9_11use_defaultESD_SD_EESD_SD_EENS9_6detail15normal_iteratorINS9_10device_ptrIiEEEESK_iNS9_4plusIvEENS9_8equal_toIvEEiEE10hipError_tPvRmT2_T3_T4_T5_mT6_T7_P12ihipStream_tbENKUlT_T0_E_clISt17integral_constantIbLb1EES15_EEDaS10_S11_EUlS10_E_NS1_11comp_targetILNS1_3genE9ELNS1_11target_archE1100ELNS1_3gpuE3ELNS1_3repE0EEENS1_30default_config_static_selectorELNS0_4arch9wavefront6targetE1EEEvT1_.private_seg_size, 0
	.set _ZN7rocprim17ROCPRIM_400000_NS6detail17trampoline_kernelINS0_14default_configENS1_27scan_by_key_config_selectorImiEEZZNS1_16scan_by_key_implILNS1_25lookback_scan_determinismE0ELb0ES3_N6thrust23THRUST_200600_302600_NS18transform_iteratorI9row_indexNS9_17counting_iteratorImNS9_11use_defaultESD_SD_EESD_SD_EENS9_6detail15normal_iteratorINS9_10device_ptrIiEEEESK_iNS9_4plusIvEENS9_8equal_toIvEEiEE10hipError_tPvRmT2_T3_T4_T5_mT6_T7_P12ihipStream_tbENKUlT_T0_E_clISt17integral_constantIbLb1EES15_EEDaS10_S11_EUlS10_E_NS1_11comp_targetILNS1_3genE9ELNS1_11target_archE1100ELNS1_3gpuE3ELNS1_3repE0EEENS1_30default_config_static_selectorELNS0_4arch9wavefront6targetE1EEEvT1_.uses_vcc, 0
	.set _ZN7rocprim17ROCPRIM_400000_NS6detail17trampoline_kernelINS0_14default_configENS1_27scan_by_key_config_selectorImiEEZZNS1_16scan_by_key_implILNS1_25lookback_scan_determinismE0ELb0ES3_N6thrust23THRUST_200600_302600_NS18transform_iteratorI9row_indexNS9_17counting_iteratorImNS9_11use_defaultESD_SD_EESD_SD_EENS9_6detail15normal_iteratorINS9_10device_ptrIiEEEESK_iNS9_4plusIvEENS9_8equal_toIvEEiEE10hipError_tPvRmT2_T3_T4_T5_mT6_T7_P12ihipStream_tbENKUlT_T0_E_clISt17integral_constantIbLb1EES15_EEDaS10_S11_EUlS10_E_NS1_11comp_targetILNS1_3genE9ELNS1_11target_archE1100ELNS1_3gpuE3ELNS1_3repE0EEENS1_30default_config_static_selectorELNS0_4arch9wavefront6targetE1EEEvT1_.uses_flat_scratch, 0
	.set _ZN7rocprim17ROCPRIM_400000_NS6detail17trampoline_kernelINS0_14default_configENS1_27scan_by_key_config_selectorImiEEZZNS1_16scan_by_key_implILNS1_25lookback_scan_determinismE0ELb0ES3_N6thrust23THRUST_200600_302600_NS18transform_iteratorI9row_indexNS9_17counting_iteratorImNS9_11use_defaultESD_SD_EESD_SD_EENS9_6detail15normal_iteratorINS9_10device_ptrIiEEEESK_iNS9_4plusIvEENS9_8equal_toIvEEiEE10hipError_tPvRmT2_T3_T4_T5_mT6_T7_P12ihipStream_tbENKUlT_T0_E_clISt17integral_constantIbLb1EES15_EEDaS10_S11_EUlS10_E_NS1_11comp_targetILNS1_3genE9ELNS1_11target_archE1100ELNS1_3gpuE3ELNS1_3repE0EEENS1_30default_config_static_selectorELNS0_4arch9wavefront6targetE1EEEvT1_.has_dyn_sized_stack, 0
	.set _ZN7rocprim17ROCPRIM_400000_NS6detail17trampoline_kernelINS0_14default_configENS1_27scan_by_key_config_selectorImiEEZZNS1_16scan_by_key_implILNS1_25lookback_scan_determinismE0ELb0ES3_N6thrust23THRUST_200600_302600_NS18transform_iteratorI9row_indexNS9_17counting_iteratorImNS9_11use_defaultESD_SD_EESD_SD_EENS9_6detail15normal_iteratorINS9_10device_ptrIiEEEESK_iNS9_4plusIvEENS9_8equal_toIvEEiEE10hipError_tPvRmT2_T3_T4_T5_mT6_T7_P12ihipStream_tbENKUlT_T0_E_clISt17integral_constantIbLb1EES15_EEDaS10_S11_EUlS10_E_NS1_11comp_targetILNS1_3genE9ELNS1_11target_archE1100ELNS1_3gpuE3ELNS1_3repE0EEENS1_30default_config_static_selectorELNS0_4arch9wavefront6targetE1EEEvT1_.has_recursion, 0
	.set _ZN7rocprim17ROCPRIM_400000_NS6detail17trampoline_kernelINS0_14default_configENS1_27scan_by_key_config_selectorImiEEZZNS1_16scan_by_key_implILNS1_25lookback_scan_determinismE0ELb0ES3_N6thrust23THRUST_200600_302600_NS18transform_iteratorI9row_indexNS9_17counting_iteratorImNS9_11use_defaultESD_SD_EESD_SD_EENS9_6detail15normal_iteratorINS9_10device_ptrIiEEEESK_iNS9_4plusIvEENS9_8equal_toIvEEiEE10hipError_tPvRmT2_T3_T4_T5_mT6_T7_P12ihipStream_tbENKUlT_T0_E_clISt17integral_constantIbLb1EES15_EEDaS10_S11_EUlS10_E_NS1_11comp_targetILNS1_3genE9ELNS1_11target_archE1100ELNS1_3gpuE3ELNS1_3repE0EEENS1_30default_config_static_selectorELNS0_4arch9wavefront6targetE1EEEvT1_.has_indirect_call, 0
	.section	.AMDGPU.csdata,"",@progbits
; Kernel info:
; codeLenInByte = 0
; TotalNumSgprs: 4
; NumVgprs: 0
; ScratchSize: 0
; MemoryBound: 0
; FloatMode: 240
; IeeeMode: 1
; LDSByteSize: 0 bytes/workgroup (compile time only)
; SGPRBlocks: 0
; VGPRBlocks: 0
; NumSGPRsForWavesPerEU: 4
; NumVGPRsForWavesPerEU: 1
; Occupancy: 10
; WaveLimiterHint : 0
; COMPUTE_PGM_RSRC2:SCRATCH_EN: 0
; COMPUTE_PGM_RSRC2:USER_SGPR: 6
; COMPUTE_PGM_RSRC2:TRAP_HANDLER: 0
; COMPUTE_PGM_RSRC2:TGID_X_EN: 1
; COMPUTE_PGM_RSRC2:TGID_Y_EN: 0
; COMPUTE_PGM_RSRC2:TGID_Z_EN: 0
; COMPUTE_PGM_RSRC2:TIDIG_COMP_CNT: 0
	.section	.text._ZN7rocprim17ROCPRIM_400000_NS6detail17trampoline_kernelINS0_14default_configENS1_27scan_by_key_config_selectorImiEEZZNS1_16scan_by_key_implILNS1_25lookback_scan_determinismE0ELb0ES3_N6thrust23THRUST_200600_302600_NS18transform_iteratorI9row_indexNS9_17counting_iteratorImNS9_11use_defaultESD_SD_EESD_SD_EENS9_6detail15normal_iteratorINS9_10device_ptrIiEEEESK_iNS9_4plusIvEENS9_8equal_toIvEEiEE10hipError_tPvRmT2_T3_T4_T5_mT6_T7_P12ihipStream_tbENKUlT_T0_E_clISt17integral_constantIbLb1EES15_EEDaS10_S11_EUlS10_E_NS1_11comp_targetILNS1_3genE8ELNS1_11target_archE1030ELNS1_3gpuE2ELNS1_3repE0EEENS1_30default_config_static_selectorELNS0_4arch9wavefront6targetE1EEEvT1_,"axG",@progbits,_ZN7rocprim17ROCPRIM_400000_NS6detail17trampoline_kernelINS0_14default_configENS1_27scan_by_key_config_selectorImiEEZZNS1_16scan_by_key_implILNS1_25lookback_scan_determinismE0ELb0ES3_N6thrust23THRUST_200600_302600_NS18transform_iteratorI9row_indexNS9_17counting_iteratorImNS9_11use_defaultESD_SD_EESD_SD_EENS9_6detail15normal_iteratorINS9_10device_ptrIiEEEESK_iNS9_4plusIvEENS9_8equal_toIvEEiEE10hipError_tPvRmT2_T3_T4_T5_mT6_T7_P12ihipStream_tbENKUlT_T0_E_clISt17integral_constantIbLb1EES15_EEDaS10_S11_EUlS10_E_NS1_11comp_targetILNS1_3genE8ELNS1_11target_archE1030ELNS1_3gpuE2ELNS1_3repE0EEENS1_30default_config_static_selectorELNS0_4arch9wavefront6targetE1EEEvT1_,comdat
	.protected	_ZN7rocprim17ROCPRIM_400000_NS6detail17trampoline_kernelINS0_14default_configENS1_27scan_by_key_config_selectorImiEEZZNS1_16scan_by_key_implILNS1_25lookback_scan_determinismE0ELb0ES3_N6thrust23THRUST_200600_302600_NS18transform_iteratorI9row_indexNS9_17counting_iteratorImNS9_11use_defaultESD_SD_EESD_SD_EENS9_6detail15normal_iteratorINS9_10device_ptrIiEEEESK_iNS9_4plusIvEENS9_8equal_toIvEEiEE10hipError_tPvRmT2_T3_T4_T5_mT6_T7_P12ihipStream_tbENKUlT_T0_E_clISt17integral_constantIbLb1EES15_EEDaS10_S11_EUlS10_E_NS1_11comp_targetILNS1_3genE8ELNS1_11target_archE1030ELNS1_3gpuE2ELNS1_3repE0EEENS1_30default_config_static_selectorELNS0_4arch9wavefront6targetE1EEEvT1_ ; -- Begin function _ZN7rocprim17ROCPRIM_400000_NS6detail17trampoline_kernelINS0_14default_configENS1_27scan_by_key_config_selectorImiEEZZNS1_16scan_by_key_implILNS1_25lookback_scan_determinismE0ELb0ES3_N6thrust23THRUST_200600_302600_NS18transform_iteratorI9row_indexNS9_17counting_iteratorImNS9_11use_defaultESD_SD_EESD_SD_EENS9_6detail15normal_iteratorINS9_10device_ptrIiEEEESK_iNS9_4plusIvEENS9_8equal_toIvEEiEE10hipError_tPvRmT2_T3_T4_T5_mT6_T7_P12ihipStream_tbENKUlT_T0_E_clISt17integral_constantIbLb1EES15_EEDaS10_S11_EUlS10_E_NS1_11comp_targetILNS1_3genE8ELNS1_11target_archE1030ELNS1_3gpuE2ELNS1_3repE0EEENS1_30default_config_static_selectorELNS0_4arch9wavefront6targetE1EEEvT1_
	.globl	_ZN7rocprim17ROCPRIM_400000_NS6detail17trampoline_kernelINS0_14default_configENS1_27scan_by_key_config_selectorImiEEZZNS1_16scan_by_key_implILNS1_25lookback_scan_determinismE0ELb0ES3_N6thrust23THRUST_200600_302600_NS18transform_iteratorI9row_indexNS9_17counting_iteratorImNS9_11use_defaultESD_SD_EESD_SD_EENS9_6detail15normal_iteratorINS9_10device_ptrIiEEEESK_iNS9_4plusIvEENS9_8equal_toIvEEiEE10hipError_tPvRmT2_T3_T4_T5_mT6_T7_P12ihipStream_tbENKUlT_T0_E_clISt17integral_constantIbLb1EES15_EEDaS10_S11_EUlS10_E_NS1_11comp_targetILNS1_3genE8ELNS1_11target_archE1030ELNS1_3gpuE2ELNS1_3repE0EEENS1_30default_config_static_selectorELNS0_4arch9wavefront6targetE1EEEvT1_
	.p2align	8
	.type	_ZN7rocprim17ROCPRIM_400000_NS6detail17trampoline_kernelINS0_14default_configENS1_27scan_by_key_config_selectorImiEEZZNS1_16scan_by_key_implILNS1_25lookback_scan_determinismE0ELb0ES3_N6thrust23THRUST_200600_302600_NS18transform_iteratorI9row_indexNS9_17counting_iteratorImNS9_11use_defaultESD_SD_EESD_SD_EENS9_6detail15normal_iteratorINS9_10device_ptrIiEEEESK_iNS9_4plusIvEENS9_8equal_toIvEEiEE10hipError_tPvRmT2_T3_T4_T5_mT6_T7_P12ihipStream_tbENKUlT_T0_E_clISt17integral_constantIbLb1EES15_EEDaS10_S11_EUlS10_E_NS1_11comp_targetILNS1_3genE8ELNS1_11target_archE1030ELNS1_3gpuE2ELNS1_3repE0EEENS1_30default_config_static_selectorELNS0_4arch9wavefront6targetE1EEEvT1_,@function
_ZN7rocprim17ROCPRIM_400000_NS6detail17trampoline_kernelINS0_14default_configENS1_27scan_by_key_config_selectorImiEEZZNS1_16scan_by_key_implILNS1_25lookback_scan_determinismE0ELb0ES3_N6thrust23THRUST_200600_302600_NS18transform_iteratorI9row_indexNS9_17counting_iteratorImNS9_11use_defaultESD_SD_EESD_SD_EENS9_6detail15normal_iteratorINS9_10device_ptrIiEEEESK_iNS9_4plusIvEENS9_8equal_toIvEEiEE10hipError_tPvRmT2_T3_T4_T5_mT6_T7_P12ihipStream_tbENKUlT_T0_E_clISt17integral_constantIbLb1EES15_EEDaS10_S11_EUlS10_E_NS1_11comp_targetILNS1_3genE8ELNS1_11target_archE1030ELNS1_3gpuE2ELNS1_3repE0EEENS1_30default_config_static_selectorELNS0_4arch9wavefront6targetE1EEEvT1_: ; @_ZN7rocprim17ROCPRIM_400000_NS6detail17trampoline_kernelINS0_14default_configENS1_27scan_by_key_config_selectorImiEEZZNS1_16scan_by_key_implILNS1_25lookback_scan_determinismE0ELb0ES3_N6thrust23THRUST_200600_302600_NS18transform_iteratorI9row_indexNS9_17counting_iteratorImNS9_11use_defaultESD_SD_EESD_SD_EENS9_6detail15normal_iteratorINS9_10device_ptrIiEEEESK_iNS9_4plusIvEENS9_8equal_toIvEEiEE10hipError_tPvRmT2_T3_T4_T5_mT6_T7_P12ihipStream_tbENKUlT_T0_E_clISt17integral_constantIbLb1EES15_EEDaS10_S11_EUlS10_E_NS1_11comp_targetILNS1_3genE8ELNS1_11target_archE1030ELNS1_3gpuE2ELNS1_3repE0EEENS1_30default_config_static_selectorELNS0_4arch9wavefront6targetE1EEEvT1_
; %bb.0:
	.section	.rodata,"a",@progbits
	.p2align	6, 0x0
	.amdhsa_kernel _ZN7rocprim17ROCPRIM_400000_NS6detail17trampoline_kernelINS0_14default_configENS1_27scan_by_key_config_selectorImiEEZZNS1_16scan_by_key_implILNS1_25lookback_scan_determinismE0ELb0ES3_N6thrust23THRUST_200600_302600_NS18transform_iteratorI9row_indexNS9_17counting_iteratorImNS9_11use_defaultESD_SD_EESD_SD_EENS9_6detail15normal_iteratorINS9_10device_ptrIiEEEESK_iNS9_4plusIvEENS9_8equal_toIvEEiEE10hipError_tPvRmT2_T3_T4_T5_mT6_T7_P12ihipStream_tbENKUlT_T0_E_clISt17integral_constantIbLb1EES15_EEDaS10_S11_EUlS10_E_NS1_11comp_targetILNS1_3genE8ELNS1_11target_archE1030ELNS1_3gpuE2ELNS1_3repE0EEENS1_30default_config_static_selectorELNS0_4arch9wavefront6targetE1EEEvT1_
		.amdhsa_group_segment_fixed_size 0
		.amdhsa_private_segment_fixed_size 0
		.amdhsa_kernarg_size 120
		.amdhsa_user_sgpr_count 6
		.amdhsa_user_sgpr_private_segment_buffer 1
		.amdhsa_user_sgpr_dispatch_ptr 0
		.amdhsa_user_sgpr_queue_ptr 0
		.amdhsa_user_sgpr_kernarg_segment_ptr 1
		.amdhsa_user_sgpr_dispatch_id 0
		.amdhsa_user_sgpr_flat_scratch_init 0
		.amdhsa_user_sgpr_private_segment_size 0
		.amdhsa_uses_dynamic_stack 0
		.amdhsa_system_sgpr_private_segment_wavefront_offset 0
		.amdhsa_system_sgpr_workgroup_id_x 1
		.amdhsa_system_sgpr_workgroup_id_y 0
		.amdhsa_system_sgpr_workgroup_id_z 0
		.amdhsa_system_sgpr_workgroup_info 0
		.amdhsa_system_vgpr_workitem_id 0
		.amdhsa_next_free_vgpr 1
		.amdhsa_next_free_sgpr 0
		.amdhsa_reserve_vcc 0
		.amdhsa_reserve_flat_scratch 0
		.amdhsa_float_round_mode_32 0
		.amdhsa_float_round_mode_16_64 0
		.amdhsa_float_denorm_mode_32 3
		.amdhsa_float_denorm_mode_16_64 3
		.amdhsa_dx10_clamp 1
		.amdhsa_ieee_mode 1
		.amdhsa_fp16_overflow 0
		.amdhsa_exception_fp_ieee_invalid_op 0
		.amdhsa_exception_fp_denorm_src 0
		.amdhsa_exception_fp_ieee_div_zero 0
		.amdhsa_exception_fp_ieee_overflow 0
		.amdhsa_exception_fp_ieee_underflow 0
		.amdhsa_exception_fp_ieee_inexact 0
		.amdhsa_exception_int_div_zero 0
	.end_amdhsa_kernel
	.section	.text._ZN7rocprim17ROCPRIM_400000_NS6detail17trampoline_kernelINS0_14default_configENS1_27scan_by_key_config_selectorImiEEZZNS1_16scan_by_key_implILNS1_25lookback_scan_determinismE0ELb0ES3_N6thrust23THRUST_200600_302600_NS18transform_iteratorI9row_indexNS9_17counting_iteratorImNS9_11use_defaultESD_SD_EESD_SD_EENS9_6detail15normal_iteratorINS9_10device_ptrIiEEEESK_iNS9_4plusIvEENS9_8equal_toIvEEiEE10hipError_tPvRmT2_T3_T4_T5_mT6_T7_P12ihipStream_tbENKUlT_T0_E_clISt17integral_constantIbLb1EES15_EEDaS10_S11_EUlS10_E_NS1_11comp_targetILNS1_3genE8ELNS1_11target_archE1030ELNS1_3gpuE2ELNS1_3repE0EEENS1_30default_config_static_selectorELNS0_4arch9wavefront6targetE1EEEvT1_,"axG",@progbits,_ZN7rocprim17ROCPRIM_400000_NS6detail17trampoline_kernelINS0_14default_configENS1_27scan_by_key_config_selectorImiEEZZNS1_16scan_by_key_implILNS1_25lookback_scan_determinismE0ELb0ES3_N6thrust23THRUST_200600_302600_NS18transform_iteratorI9row_indexNS9_17counting_iteratorImNS9_11use_defaultESD_SD_EESD_SD_EENS9_6detail15normal_iteratorINS9_10device_ptrIiEEEESK_iNS9_4plusIvEENS9_8equal_toIvEEiEE10hipError_tPvRmT2_T3_T4_T5_mT6_T7_P12ihipStream_tbENKUlT_T0_E_clISt17integral_constantIbLb1EES15_EEDaS10_S11_EUlS10_E_NS1_11comp_targetILNS1_3genE8ELNS1_11target_archE1030ELNS1_3gpuE2ELNS1_3repE0EEENS1_30default_config_static_selectorELNS0_4arch9wavefront6targetE1EEEvT1_,comdat
.Lfunc_end22:
	.size	_ZN7rocprim17ROCPRIM_400000_NS6detail17trampoline_kernelINS0_14default_configENS1_27scan_by_key_config_selectorImiEEZZNS1_16scan_by_key_implILNS1_25lookback_scan_determinismE0ELb0ES3_N6thrust23THRUST_200600_302600_NS18transform_iteratorI9row_indexNS9_17counting_iteratorImNS9_11use_defaultESD_SD_EESD_SD_EENS9_6detail15normal_iteratorINS9_10device_ptrIiEEEESK_iNS9_4plusIvEENS9_8equal_toIvEEiEE10hipError_tPvRmT2_T3_T4_T5_mT6_T7_P12ihipStream_tbENKUlT_T0_E_clISt17integral_constantIbLb1EES15_EEDaS10_S11_EUlS10_E_NS1_11comp_targetILNS1_3genE8ELNS1_11target_archE1030ELNS1_3gpuE2ELNS1_3repE0EEENS1_30default_config_static_selectorELNS0_4arch9wavefront6targetE1EEEvT1_, .Lfunc_end22-_ZN7rocprim17ROCPRIM_400000_NS6detail17trampoline_kernelINS0_14default_configENS1_27scan_by_key_config_selectorImiEEZZNS1_16scan_by_key_implILNS1_25lookback_scan_determinismE0ELb0ES3_N6thrust23THRUST_200600_302600_NS18transform_iteratorI9row_indexNS9_17counting_iteratorImNS9_11use_defaultESD_SD_EESD_SD_EENS9_6detail15normal_iteratorINS9_10device_ptrIiEEEESK_iNS9_4plusIvEENS9_8equal_toIvEEiEE10hipError_tPvRmT2_T3_T4_T5_mT6_T7_P12ihipStream_tbENKUlT_T0_E_clISt17integral_constantIbLb1EES15_EEDaS10_S11_EUlS10_E_NS1_11comp_targetILNS1_3genE8ELNS1_11target_archE1030ELNS1_3gpuE2ELNS1_3repE0EEENS1_30default_config_static_selectorELNS0_4arch9wavefront6targetE1EEEvT1_
                                        ; -- End function
	.set _ZN7rocprim17ROCPRIM_400000_NS6detail17trampoline_kernelINS0_14default_configENS1_27scan_by_key_config_selectorImiEEZZNS1_16scan_by_key_implILNS1_25lookback_scan_determinismE0ELb0ES3_N6thrust23THRUST_200600_302600_NS18transform_iteratorI9row_indexNS9_17counting_iteratorImNS9_11use_defaultESD_SD_EESD_SD_EENS9_6detail15normal_iteratorINS9_10device_ptrIiEEEESK_iNS9_4plusIvEENS9_8equal_toIvEEiEE10hipError_tPvRmT2_T3_T4_T5_mT6_T7_P12ihipStream_tbENKUlT_T0_E_clISt17integral_constantIbLb1EES15_EEDaS10_S11_EUlS10_E_NS1_11comp_targetILNS1_3genE8ELNS1_11target_archE1030ELNS1_3gpuE2ELNS1_3repE0EEENS1_30default_config_static_selectorELNS0_4arch9wavefront6targetE1EEEvT1_.num_vgpr, 0
	.set _ZN7rocprim17ROCPRIM_400000_NS6detail17trampoline_kernelINS0_14default_configENS1_27scan_by_key_config_selectorImiEEZZNS1_16scan_by_key_implILNS1_25lookback_scan_determinismE0ELb0ES3_N6thrust23THRUST_200600_302600_NS18transform_iteratorI9row_indexNS9_17counting_iteratorImNS9_11use_defaultESD_SD_EESD_SD_EENS9_6detail15normal_iteratorINS9_10device_ptrIiEEEESK_iNS9_4plusIvEENS9_8equal_toIvEEiEE10hipError_tPvRmT2_T3_T4_T5_mT6_T7_P12ihipStream_tbENKUlT_T0_E_clISt17integral_constantIbLb1EES15_EEDaS10_S11_EUlS10_E_NS1_11comp_targetILNS1_3genE8ELNS1_11target_archE1030ELNS1_3gpuE2ELNS1_3repE0EEENS1_30default_config_static_selectorELNS0_4arch9wavefront6targetE1EEEvT1_.num_agpr, 0
	.set _ZN7rocprim17ROCPRIM_400000_NS6detail17trampoline_kernelINS0_14default_configENS1_27scan_by_key_config_selectorImiEEZZNS1_16scan_by_key_implILNS1_25lookback_scan_determinismE0ELb0ES3_N6thrust23THRUST_200600_302600_NS18transform_iteratorI9row_indexNS9_17counting_iteratorImNS9_11use_defaultESD_SD_EESD_SD_EENS9_6detail15normal_iteratorINS9_10device_ptrIiEEEESK_iNS9_4plusIvEENS9_8equal_toIvEEiEE10hipError_tPvRmT2_T3_T4_T5_mT6_T7_P12ihipStream_tbENKUlT_T0_E_clISt17integral_constantIbLb1EES15_EEDaS10_S11_EUlS10_E_NS1_11comp_targetILNS1_3genE8ELNS1_11target_archE1030ELNS1_3gpuE2ELNS1_3repE0EEENS1_30default_config_static_selectorELNS0_4arch9wavefront6targetE1EEEvT1_.numbered_sgpr, 0
	.set _ZN7rocprim17ROCPRIM_400000_NS6detail17trampoline_kernelINS0_14default_configENS1_27scan_by_key_config_selectorImiEEZZNS1_16scan_by_key_implILNS1_25lookback_scan_determinismE0ELb0ES3_N6thrust23THRUST_200600_302600_NS18transform_iteratorI9row_indexNS9_17counting_iteratorImNS9_11use_defaultESD_SD_EESD_SD_EENS9_6detail15normal_iteratorINS9_10device_ptrIiEEEESK_iNS9_4plusIvEENS9_8equal_toIvEEiEE10hipError_tPvRmT2_T3_T4_T5_mT6_T7_P12ihipStream_tbENKUlT_T0_E_clISt17integral_constantIbLb1EES15_EEDaS10_S11_EUlS10_E_NS1_11comp_targetILNS1_3genE8ELNS1_11target_archE1030ELNS1_3gpuE2ELNS1_3repE0EEENS1_30default_config_static_selectorELNS0_4arch9wavefront6targetE1EEEvT1_.num_named_barrier, 0
	.set _ZN7rocprim17ROCPRIM_400000_NS6detail17trampoline_kernelINS0_14default_configENS1_27scan_by_key_config_selectorImiEEZZNS1_16scan_by_key_implILNS1_25lookback_scan_determinismE0ELb0ES3_N6thrust23THRUST_200600_302600_NS18transform_iteratorI9row_indexNS9_17counting_iteratorImNS9_11use_defaultESD_SD_EESD_SD_EENS9_6detail15normal_iteratorINS9_10device_ptrIiEEEESK_iNS9_4plusIvEENS9_8equal_toIvEEiEE10hipError_tPvRmT2_T3_T4_T5_mT6_T7_P12ihipStream_tbENKUlT_T0_E_clISt17integral_constantIbLb1EES15_EEDaS10_S11_EUlS10_E_NS1_11comp_targetILNS1_3genE8ELNS1_11target_archE1030ELNS1_3gpuE2ELNS1_3repE0EEENS1_30default_config_static_selectorELNS0_4arch9wavefront6targetE1EEEvT1_.private_seg_size, 0
	.set _ZN7rocprim17ROCPRIM_400000_NS6detail17trampoline_kernelINS0_14default_configENS1_27scan_by_key_config_selectorImiEEZZNS1_16scan_by_key_implILNS1_25lookback_scan_determinismE0ELb0ES3_N6thrust23THRUST_200600_302600_NS18transform_iteratorI9row_indexNS9_17counting_iteratorImNS9_11use_defaultESD_SD_EESD_SD_EENS9_6detail15normal_iteratorINS9_10device_ptrIiEEEESK_iNS9_4plusIvEENS9_8equal_toIvEEiEE10hipError_tPvRmT2_T3_T4_T5_mT6_T7_P12ihipStream_tbENKUlT_T0_E_clISt17integral_constantIbLb1EES15_EEDaS10_S11_EUlS10_E_NS1_11comp_targetILNS1_3genE8ELNS1_11target_archE1030ELNS1_3gpuE2ELNS1_3repE0EEENS1_30default_config_static_selectorELNS0_4arch9wavefront6targetE1EEEvT1_.uses_vcc, 0
	.set _ZN7rocprim17ROCPRIM_400000_NS6detail17trampoline_kernelINS0_14default_configENS1_27scan_by_key_config_selectorImiEEZZNS1_16scan_by_key_implILNS1_25lookback_scan_determinismE0ELb0ES3_N6thrust23THRUST_200600_302600_NS18transform_iteratorI9row_indexNS9_17counting_iteratorImNS9_11use_defaultESD_SD_EESD_SD_EENS9_6detail15normal_iteratorINS9_10device_ptrIiEEEESK_iNS9_4plusIvEENS9_8equal_toIvEEiEE10hipError_tPvRmT2_T3_T4_T5_mT6_T7_P12ihipStream_tbENKUlT_T0_E_clISt17integral_constantIbLb1EES15_EEDaS10_S11_EUlS10_E_NS1_11comp_targetILNS1_3genE8ELNS1_11target_archE1030ELNS1_3gpuE2ELNS1_3repE0EEENS1_30default_config_static_selectorELNS0_4arch9wavefront6targetE1EEEvT1_.uses_flat_scratch, 0
	.set _ZN7rocprim17ROCPRIM_400000_NS6detail17trampoline_kernelINS0_14default_configENS1_27scan_by_key_config_selectorImiEEZZNS1_16scan_by_key_implILNS1_25lookback_scan_determinismE0ELb0ES3_N6thrust23THRUST_200600_302600_NS18transform_iteratorI9row_indexNS9_17counting_iteratorImNS9_11use_defaultESD_SD_EESD_SD_EENS9_6detail15normal_iteratorINS9_10device_ptrIiEEEESK_iNS9_4plusIvEENS9_8equal_toIvEEiEE10hipError_tPvRmT2_T3_T4_T5_mT6_T7_P12ihipStream_tbENKUlT_T0_E_clISt17integral_constantIbLb1EES15_EEDaS10_S11_EUlS10_E_NS1_11comp_targetILNS1_3genE8ELNS1_11target_archE1030ELNS1_3gpuE2ELNS1_3repE0EEENS1_30default_config_static_selectorELNS0_4arch9wavefront6targetE1EEEvT1_.has_dyn_sized_stack, 0
	.set _ZN7rocprim17ROCPRIM_400000_NS6detail17trampoline_kernelINS0_14default_configENS1_27scan_by_key_config_selectorImiEEZZNS1_16scan_by_key_implILNS1_25lookback_scan_determinismE0ELb0ES3_N6thrust23THRUST_200600_302600_NS18transform_iteratorI9row_indexNS9_17counting_iteratorImNS9_11use_defaultESD_SD_EESD_SD_EENS9_6detail15normal_iteratorINS9_10device_ptrIiEEEESK_iNS9_4plusIvEENS9_8equal_toIvEEiEE10hipError_tPvRmT2_T3_T4_T5_mT6_T7_P12ihipStream_tbENKUlT_T0_E_clISt17integral_constantIbLb1EES15_EEDaS10_S11_EUlS10_E_NS1_11comp_targetILNS1_3genE8ELNS1_11target_archE1030ELNS1_3gpuE2ELNS1_3repE0EEENS1_30default_config_static_selectorELNS0_4arch9wavefront6targetE1EEEvT1_.has_recursion, 0
	.set _ZN7rocprim17ROCPRIM_400000_NS6detail17trampoline_kernelINS0_14default_configENS1_27scan_by_key_config_selectorImiEEZZNS1_16scan_by_key_implILNS1_25lookback_scan_determinismE0ELb0ES3_N6thrust23THRUST_200600_302600_NS18transform_iteratorI9row_indexNS9_17counting_iteratorImNS9_11use_defaultESD_SD_EESD_SD_EENS9_6detail15normal_iteratorINS9_10device_ptrIiEEEESK_iNS9_4plusIvEENS9_8equal_toIvEEiEE10hipError_tPvRmT2_T3_T4_T5_mT6_T7_P12ihipStream_tbENKUlT_T0_E_clISt17integral_constantIbLb1EES15_EEDaS10_S11_EUlS10_E_NS1_11comp_targetILNS1_3genE8ELNS1_11target_archE1030ELNS1_3gpuE2ELNS1_3repE0EEENS1_30default_config_static_selectorELNS0_4arch9wavefront6targetE1EEEvT1_.has_indirect_call, 0
	.section	.AMDGPU.csdata,"",@progbits
; Kernel info:
; codeLenInByte = 0
; TotalNumSgprs: 4
; NumVgprs: 0
; ScratchSize: 0
; MemoryBound: 0
; FloatMode: 240
; IeeeMode: 1
; LDSByteSize: 0 bytes/workgroup (compile time only)
; SGPRBlocks: 0
; VGPRBlocks: 0
; NumSGPRsForWavesPerEU: 4
; NumVGPRsForWavesPerEU: 1
; Occupancy: 10
; WaveLimiterHint : 0
; COMPUTE_PGM_RSRC2:SCRATCH_EN: 0
; COMPUTE_PGM_RSRC2:USER_SGPR: 6
; COMPUTE_PGM_RSRC2:TRAP_HANDLER: 0
; COMPUTE_PGM_RSRC2:TGID_X_EN: 1
; COMPUTE_PGM_RSRC2:TGID_Y_EN: 0
; COMPUTE_PGM_RSRC2:TGID_Z_EN: 0
; COMPUTE_PGM_RSRC2:TIDIG_COMP_CNT: 0
	.section	.text._ZN7rocprim17ROCPRIM_400000_NS6detail30init_device_scan_by_key_kernelINS1_19lookback_scan_stateINS0_5tupleIJibEEELb1ELb1EEEN6thrust23THRUST_200600_302600_NS18transform_iteratorI9row_indexNS8_17counting_iteratorImNS8_11use_defaultESC_SC_EESC_SC_EEjNS1_16block_id_wrapperIjLb0EEEEEvT_jjPNSH_10value_typeET0_PNSt15iterator_traitsISK_E10value_typeEmT1_T2_,"axG",@progbits,_ZN7rocprim17ROCPRIM_400000_NS6detail30init_device_scan_by_key_kernelINS1_19lookback_scan_stateINS0_5tupleIJibEEELb1ELb1EEEN6thrust23THRUST_200600_302600_NS18transform_iteratorI9row_indexNS8_17counting_iteratorImNS8_11use_defaultESC_SC_EESC_SC_EEjNS1_16block_id_wrapperIjLb0EEEEEvT_jjPNSH_10value_typeET0_PNSt15iterator_traitsISK_E10value_typeEmT1_T2_,comdat
	.protected	_ZN7rocprim17ROCPRIM_400000_NS6detail30init_device_scan_by_key_kernelINS1_19lookback_scan_stateINS0_5tupleIJibEEELb1ELb1EEEN6thrust23THRUST_200600_302600_NS18transform_iteratorI9row_indexNS8_17counting_iteratorImNS8_11use_defaultESC_SC_EESC_SC_EEjNS1_16block_id_wrapperIjLb0EEEEEvT_jjPNSH_10value_typeET0_PNSt15iterator_traitsISK_E10value_typeEmT1_T2_ ; -- Begin function _ZN7rocprim17ROCPRIM_400000_NS6detail30init_device_scan_by_key_kernelINS1_19lookback_scan_stateINS0_5tupleIJibEEELb1ELb1EEEN6thrust23THRUST_200600_302600_NS18transform_iteratorI9row_indexNS8_17counting_iteratorImNS8_11use_defaultESC_SC_EESC_SC_EEjNS1_16block_id_wrapperIjLb0EEEEEvT_jjPNSH_10value_typeET0_PNSt15iterator_traitsISK_E10value_typeEmT1_T2_
	.globl	_ZN7rocprim17ROCPRIM_400000_NS6detail30init_device_scan_by_key_kernelINS1_19lookback_scan_stateINS0_5tupleIJibEEELb1ELb1EEEN6thrust23THRUST_200600_302600_NS18transform_iteratorI9row_indexNS8_17counting_iteratorImNS8_11use_defaultESC_SC_EESC_SC_EEjNS1_16block_id_wrapperIjLb0EEEEEvT_jjPNSH_10value_typeET0_PNSt15iterator_traitsISK_E10value_typeEmT1_T2_
	.p2align	8
	.type	_ZN7rocprim17ROCPRIM_400000_NS6detail30init_device_scan_by_key_kernelINS1_19lookback_scan_stateINS0_5tupleIJibEEELb1ELb1EEEN6thrust23THRUST_200600_302600_NS18transform_iteratorI9row_indexNS8_17counting_iteratorImNS8_11use_defaultESC_SC_EESC_SC_EEjNS1_16block_id_wrapperIjLb0EEEEEvT_jjPNSH_10value_typeET0_PNSt15iterator_traitsISK_E10value_typeEmT1_T2_,@function
_ZN7rocprim17ROCPRIM_400000_NS6detail30init_device_scan_by_key_kernelINS1_19lookback_scan_stateINS0_5tupleIJibEEELb1ELb1EEEN6thrust23THRUST_200600_302600_NS18transform_iteratorI9row_indexNS8_17counting_iteratorImNS8_11use_defaultESC_SC_EESC_SC_EEjNS1_16block_id_wrapperIjLb0EEEEEvT_jjPNSH_10value_typeET0_PNSt15iterator_traitsISK_E10value_typeEmT1_T2_: ; @_ZN7rocprim17ROCPRIM_400000_NS6detail30init_device_scan_by_key_kernelINS1_19lookback_scan_stateINS0_5tupleIJibEEELb1ELb1EEEN6thrust23THRUST_200600_302600_NS18transform_iteratorI9row_indexNS8_17counting_iteratorImNS8_11use_defaultESC_SC_EESC_SC_EEjNS1_16block_id_wrapperIjLb0EEEEEvT_jjPNSH_10value_typeET0_PNSt15iterator_traitsISK_E10value_typeEmT1_T2_
; %bb.0:
	s_load_dword s0, s[4:5], 0x4c
	s_load_dwordx8 s[8:15], s[4:5], 0x0
	s_load_dword s18, s[4:5], 0x40
	s_waitcnt lgkmcnt(0)
	s_and_b32 s19, s0, 0xffff
	s_mul_i32 s6, s6, s19
	s_cmp_eq_u64 s[12:13], 0
	v_add_u32_e32 v4, s6, v0
	s_cbranch_scc1 .LBB23_10
; %bb.1:
	s_cmp_lt_u32 s11, s10
	s_cselect_b32 s0, s11, 0
	s_mov_b32 s3, 0
	v_cmp_eq_u32_e32 vcc, s0, v4
	s_and_saveexec_b64 s[0:1], vcc
	s_cbranch_execz .LBB23_9
; %bb.2:
	s_add_i32 s2, s11, 64
	s_lshl_b64 s[2:3], s[2:3], 4
	s_add_u32 s16, s8, s2
	s_addc_u32 s17, s9, s3
	v_mov_b32_e32 v0, s16
	v_mov_b32_e32 v1, s17
	;;#ASMSTART
	global_load_dwordx4 v[0:3], v[0:1] off glc	
s_waitcnt vmcnt(0)
	;;#ASMEND
	v_and_b32_e32 v5, 0xff, v2
	v_mov_b32_e32 v6, 0
	v_cmp_eq_u64_e32 vcc, 0, v[5:6]
	s_mov_b64 s[6:7], 0
	s_and_saveexec_b64 s[2:3], vcc
	s_cbranch_execz .LBB23_8
; %bb.3:
	v_mov_b32_e32 v7, s16
	s_mov_b32 s11, 1
	v_mov_b32_e32 v8, s17
.LBB23_4:                               ; =>This Loop Header: Depth=1
                                        ;     Child Loop BB23_5 Depth 2
	s_mov_b32 s16, s11
.LBB23_5:                               ;   Parent Loop BB23_4 Depth=1
                                        ; =>  This Inner Loop Header: Depth=2
	s_add_i32 s16, s16, -1
	s_cmp_eq_u32 s16, 0
	s_sleep 1
	s_cbranch_scc0 .LBB23_5
; %bb.6:                                ;   in Loop: Header=BB23_4 Depth=1
	s_cmp_lt_u32 s11, 32
	s_cselect_b64 s[16:17], -1, 0
	;;#ASMSTART
	global_load_dwordx4 v[0:3], v[7:8] off glc	
s_waitcnt vmcnt(0)
	;;#ASMEND
	v_and_b32_e32 v5, 0xff, v2
	s_cmp_lg_u64 s[16:17], 0
	v_cmp_ne_u64_e32 vcc, 0, v[5:6]
	s_addc_u32 s11, s11, 0
	s_or_b64 s[6:7], vcc, s[6:7]
	s_andn2_b64 exec, exec, s[6:7]
	s_cbranch_execnz .LBB23_4
; %bb.7:
	s_or_b64 exec, exec, s[6:7]
.LBB23_8:
	s_or_b64 exec, exec, s[2:3]
	v_mov_b32_e32 v2, 0
	global_store_dword v2, v0, s[12:13]
	global_store_byte v2, v1, s[12:13] offset:4
.LBB23_9:
	s_or_b64 exec, exec, s[0:1]
.LBB23_10:
	v_cmp_gt_u32_e32 vcc, s10, v4
	s_and_saveexec_b64 s[0:1], vcc
	s_cbranch_execz .LBB23_12
; %bb.11:
	v_add_u32_e32 v0, 64, v4
	v_mov_b32_e32 v1, 0
	v_lshlrev_b64 v[2:3], 4, v[0:1]
	v_mov_b32_e32 v0, s9
	v_add_co_u32_e32 v5, vcc, s8, v2
	v_addc_co_u32_e32 v6, vcc, v0, v3, vcc
	v_mov_b32_e32 v0, v1
	v_mov_b32_e32 v2, v1
	;; [unrolled: 1-line block ×3, first 2 shown]
	global_store_dwordx4 v[5:6], v[0:3], off
.LBB23_12:
	s_or_b64 exec, exec, s[0:1]
	v_cmp_gt_u32_e32 vcc, 64, v4
	v_mov_b32_e32 v5, 0
	s_and_saveexec_b64 s[0:1], vcc
	s_cbranch_execz .LBB23_14
; %bb.13:
	v_lshlrev_b64 v[0:1], 4, v[4:5]
	v_mov_b32_e32 v2, s9
	v_add_co_u32_e32 v6, vcc, s8, v0
	v_addc_co_u32_e32 v7, vcc, v2, v1, vcc
	v_mov_b32_e32 v2, 0xff
	v_mov_b32_e32 v0, v5
	v_mov_b32_e32 v1, v5
	v_mov_b32_e32 v3, v5
	global_store_dwordx4 v[6:7], v[0:3], off
.LBB23_14:
	s_or_b64 exec, exec, s[0:1]
	s_load_dwordx2 s[2:3], s[4:5], 0x30
	s_waitcnt lgkmcnt(0)
	v_cmp_gt_u64_e32 vcc, s[2:3], v[4:5]
	s_and_saveexec_b64 s[0:1], vcc
	s_cbranch_execz .LBB23_21
; %bb.15:
	s_load_dword s6, s[4:5], 0x38
	s_load_dwordx4 s[8:11], s[4:5], 0x20
	v_lshlrev_b64 v[2:3], 3, v[4:5]
	s_mul_i32 s4, s18, s19
	s_mov_b32 s5, 0
	s_waitcnt lgkmcnt(0)
	s_add_i32 s0, s6, -1
	v_cvt_f32_u32_e32 v6, s8
	v_cvt_f32_u32_e32 v7, s9
	s_add_u32 s0, s0, s14
	s_addc_u32 s1, 0, s15
	v_mov_b32_e32 v0, s0
	v_madmk_f32 v6, v7, 0x4f800000, v6
	v_rcp_f32_e32 v6, v6
	v_mov_b32_e32 v1, s1
	v_mad_u64_u32 v[0:1], s[0:1], s6, v4, v[0:1]
	v_mul_f32_e32 v6, 0x5f7ffffc, v6
	v_mul_f32_e32 v7, 0x2f800000, v6
	v_trunc_f32_e32 v7, v7
	v_madmk_f32 v6, v7, 0xcf800000, v6
	v_cvt_u32_f32_e32 v9, v6
	v_cvt_u32_f32_e32 v10, v7
	v_mov_b32_e32 v8, s11
	v_add_co_u32_e32 v2, vcc, s10, v2
	s_mul_hi_u32 s14, s6, s4
	s_mul_i32 s15, s6, s4
	v_addc_co_u32_e32 v3, vcc, v8, v3, vcc
	s_lshl_b64 s[6:7], s[4:5], 3
	s_mov_b64 s[10:11], 0
	v_mov_b32_e32 v6, 0
	s_branch .LBB23_17
.LBB23_16:                              ;   in Loop: Header=BB23_17 Depth=1
	s_or_b64 exec, exec, s[0:1]
	v_add_co_u32_e32 v4, vcc, s4, v4
	v_addc_co_u32_e32 v5, vcc, 0, v5, vcc
	global_store_dwordx2 v[2:3], v[7:8], off
	v_mov_b32_e32 v7, s14
	v_add_co_u32_e32 v0, vcc, s15, v0
	v_addc_co_u32_e32 v1, vcc, v1, v7, vcc
	v_cmp_le_u64_e32 vcc, s[2:3], v[4:5]
	v_mov_b32_e32 v7, s7
	s_or_b64 s[10:11], vcc, s[10:11]
	v_add_co_u32_e32 v2, vcc, s6, v2
	v_addc_co_u32_e32 v3, vcc, v3, v7, vcc
	s_andn2_b64 exec, exec, s[10:11]
	s_cbranch_execz .LBB23_21
.LBB23_17:                              ; =>This Inner Loop Header: Depth=1
	v_or_b32_e32 v7, s9, v1
	v_cmp_ne_u64_e32 vcc, 0, v[6:7]
                                        ; implicit-def: $vgpr7_vgpr8
	s_and_saveexec_b64 s[0:1], vcc
	s_xor_b64 s[12:13], exec, s[0:1]
	s_cbranch_execz .LBB23_19
; %bb.18:                               ;   in Loop: Header=BB23_17 Depth=1
	s_sub_u32 s5, 0, s8
	v_readfirstlane_b32 s0, v9
	v_readfirstlane_b32 s18, v10
	s_subb_u32 s16, 0, s9
	s_mul_hi_u32 s17, s5, s0
	s_mul_i32 s19, s5, s18
	s_mul_i32 s1, s16, s0
	s_add_i32 s17, s17, s19
	s_add_i32 s17, s17, s1
	s_mul_i32 s20, s5, s0
	s_mul_i32 s19, s0, s17
	s_mul_hi_u32 s21, s0, s20
	s_mul_hi_u32 s1, s0, s17
	s_add_u32 s19, s21, s19
	s_addc_u32 s1, 0, s1
	s_mul_hi_u32 s22, s18, s20
	s_mul_i32 s20, s18, s20
	s_add_u32 s19, s19, s20
	s_mul_hi_u32 s21, s18, s17
	s_addc_u32 s1, s1, s22
	s_addc_u32 s19, s21, 0
	s_mul_i32 s17, s18, s17
	s_add_u32 s1, s1, s17
	s_addc_u32 s17, 0, s19
	s_add_u32 s19, s0, s1
	s_cselect_b64 s[0:1], -1, 0
	s_cmp_lg_u64 s[0:1], 0
	s_addc_u32 s17, s18, s17
	s_mul_i32 s0, s5, s17
	s_mul_hi_u32 s1, s5, s19
	s_add_i32 s0, s1, s0
	s_mul_i32 s16, s16, s19
	s_add_i32 s0, s0, s16
	s_mul_i32 s5, s5, s19
	s_mul_hi_u32 s16, s17, s5
	s_mul_i32 s18, s17, s5
	s_mul_i32 s21, s19, s0
	s_mul_hi_u32 s5, s19, s5
	s_mul_hi_u32 s20, s19, s0
	s_add_u32 s5, s5, s21
	s_addc_u32 s20, 0, s20
	s_add_u32 s5, s5, s18
	s_mul_hi_u32 s1, s17, s0
	s_addc_u32 s5, s20, s16
	s_addc_u32 s1, s1, 0
	s_mul_i32 s0, s17, s0
	s_add_u32 s0, s5, s0
	s_addc_u32 s5, 0, s1
	s_add_u32 s16, s19, s0
	s_cselect_b64 s[0:1], -1, 0
	s_cmp_lg_u64 s[0:1], 0
	s_addc_u32 s5, s17, s5
	v_mad_u64_u32 v[7:8], s[0:1], v0, s5, 0
	v_mul_hi_u32 v11, v0, s16
	v_add_co_u32_e32 v13, vcc, v11, v7
	v_addc_co_u32_e32 v14, vcc, 0, v8, vcc
	v_mad_u64_u32 v[7:8], s[0:1], v1, s16, 0
	v_mad_u64_u32 v[11:12], s[0:1], v1, s5, 0
	v_add_co_u32_e32 v7, vcc, v13, v7
	v_addc_co_u32_e32 v7, vcc, v14, v8, vcc
	v_addc_co_u32_e32 v8, vcc, 0, v12, vcc
	v_add_co_u32_e32 v11, vcc, v7, v11
	v_addc_co_u32_e32 v12, vcc, 0, v8, vcc
	v_mul_lo_u32 v13, s9, v11
	v_mul_lo_u32 v14, s8, v12
	v_mad_u64_u32 v[7:8], s[0:1], s8, v11, 0
	v_add3_u32 v8, v8, v14, v13
	v_sub_u32_e32 v13, v1, v8
	v_mov_b32_e32 v14, s9
	v_sub_co_u32_e32 v7, vcc, v0, v7
	v_subb_co_u32_e64 v13, s[0:1], v13, v14, vcc
	v_subrev_co_u32_e64 v14, s[0:1], s8, v7
	v_subbrev_co_u32_e64 v13, s[0:1], 0, v13, s[0:1]
	v_cmp_le_u32_e64 s[0:1], s9, v13
	v_cndmask_b32_e64 v15, 0, -1, s[0:1]
	v_cmp_le_u32_e64 s[0:1], s8, v14
	v_cndmask_b32_e64 v14, 0, -1, s[0:1]
	v_cmp_eq_u32_e64 s[0:1], s9, v13
	v_cndmask_b32_e64 v13, v15, v14, s[0:1]
	v_add_co_u32_e64 v14, s[0:1], 2, v11
	v_addc_co_u32_e64 v15, s[0:1], 0, v12, s[0:1]
	v_add_co_u32_e64 v16, s[0:1], 1, v11
	v_addc_co_u32_e64 v17, s[0:1], 0, v12, s[0:1]
	v_subb_co_u32_e32 v8, vcc, v1, v8, vcc
	v_cmp_ne_u32_e64 s[0:1], 0, v13
	v_cmp_le_u32_e32 vcc, s9, v8
	v_cndmask_b32_e64 v13, v17, v15, s[0:1]
	v_cndmask_b32_e64 v15, 0, -1, vcc
	v_cmp_le_u32_e32 vcc, s8, v7
	v_cndmask_b32_e64 v7, 0, -1, vcc
	v_cmp_eq_u32_e32 vcc, s9, v8
	v_cndmask_b32_e32 v7, v15, v7, vcc
	v_cmp_ne_u32_e32 vcc, 0, v7
	v_cndmask_b32_e64 v7, v16, v14, s[0:1]
	v_cndmask_b32_e32 v8, v12, v13, vcc
	v_cndmask_b32_e32 v7, v11, v7, vcc
.LBB23_19:                              ;   in Loop: Header=BB23_17 Depth=1
	s_andn2_saveexec_b64 s[0:1], s[12:13]
	s_cbranch_execz .LBB23_16
; %bb.20:                               ;   in Loop: Header=BB23_17 Depth=1
	v_cvt_f32_u32_e32 v7, s8
	s_sub_i32 s5, 0, s8
	v_rcp_iflag_f32_e32 v7, v7
	v_mul_f32_e32 v7, 0x4f7ffffe, v7
	v_cvt_u32_f32_e32 v7, v7
	v_mul_lo_u32 v8, s5, v7
	v_mul_hi_u32 v8, v7, v8
	v_add_u32_e32 v7, v7, v8
	v_mul_hi_u32 v7, v0, v7
	v_mul_lo_u32 v8, v7, s8
	v_add_u32_e32 v11, 1, v7
	v_sub_u32_e32 v8, v0, v8
	v_subrev_u32_e32 v12, s8, v8
	v_cmp_le_u32_e32 vcc, s8, v8
	v_cndmask_b32_e32 v8, v8, v12, vcc
	v_cndmask_b32_e32 v7, v7, v11, vcc
	v_add_u32_e32 v11, 1, v7
	v_cmp_le_u32_e32 vcc, s8, v8
	v_cndmask_b32_e32 v7, v7, v11, vcc
	v_mov_b32_e32 v8, v6
	s_branch .LBB23_16
.LBB23_21:
	s_endpgm
	.section	.rodata,"a",@progbits
	.p2align	6, 0x0
	.amdhsa_kernel _ZN7rocprim17ROCPRIM_400000_NS6detail30init_device_scan_by_key_kernelINS1_19lookback_scan_stateINS0_5tupleIJibEEELb1ELb1EEEN6thrust23THRUST_200600_302600_NS18transform_iteratorI9row_indexNS8_17counting_iteratorImNS8_11use_defaultESC_SC_EESC_SC_EEjNS1_16block_id_wrapperIjLb0EEEEEvT_jjPNSH_10value_typeET0_PNSt15iterator_traitsISK_E10value_typeEmT1_T2_
		.amdhsa_group_segment_fixed_size 0
		.amdhsa_private_segment_fixed_size 0
		.amdhsa_kernarg_size 320
		.amdhsa_user_sgpr_count 6
		.amdhsa_user_sgpr_private_segment_buffer 1
		.amdhsa_user_sgpr_dispatch_ptr 0
		.amdhsa_user_sgpr_queue_ptr 0
		.amdhsa_user_sgpr_kernarg_segment_ptr 1
		.amdhsa_user_sgpr_dispatch_id 0
		.amdhsa_user_sgpr_flat_scratch_init 0
		.amdhsa_user_sgpr_private_segment_size 0
		.amdhsa_uses_dynamic_stack 0
		.amdhsa_system_sgpr_private_segment_wavefront_offset 0
		.amdhsa_system_sgpr_workgroup_id_x 1
		.amdhsa_system_sgpr_workgroup_id_y 0
		.amdhsa_system_sgpr_workgroup_id_z 0
		.amdhsa_system_sgpr_workgroup_info 0
		.amdhsa_system_vgpr_workitem_id 0
		.amdhsa_next_free_vgpr 18
		.amdhsa_next_free_sgpr 23
		.amdhsa_reserve_vcc 1
		.amdhsa_reserve_flat_scratch 0
		.amdhsa_float_round_mode_32 0
		.amdhsa_float_round_mode_16_64 0
		.amdhsa_float_denorm_mode_32 3
		.amdhsa_float_denorm_mode_16_64 3
		.amdhsa_dx10_clamp 1
		.amdhsa_ieee_mode 1
		.amdhsa_fp16_overflow 0
		.amdhsa_exception_fp_ieee_invalid_op 0
		.amdhsa_exception_fp_denorm_src 0
		.amdhsa_exception_fp_ieee_div_zero 0
		.amdhsa_exception_fp_ieee_overflow 0
		.amdhsa_exception_fp_ieee_underflow 0
		.amdhsa_exception_fp_ieee_inexact 0
		.amdhsa_exception_int_div_zero 0
	.end_amdhsa_kernel
	.section	.text._ZN7rocprim17ROCPRIM_400000_NS6detail30init_device_scan_by_key_kernelINS1_19lookback_scan_stateINS0_5tupleIJibEEELb1ELb1EEEN6thrust23THRUST_200600_302600_NS18transform_iteratorI9row_indexNS8_17counting_iteratorImNS8_11use_defaultESC_SC_EESC_SC_EEjNS1_16block_id_wrapperIjLb0EEEEEvT_jjPNSH_10value_typeET0_PNSt15iterator_traitsISK_E10value_typeEmT1_T2_,"axG",@progbits,_ZN7rocprim17ROCPRIM_400000_NS6detail30init_device_scan_by_key_kernelINS1_19lookback_scan_stateINS0_5tupleIJibEEELb1ELb1EEEN6thrust23THRUST_200600_302600_NS18transform_iteratorI9row_indexNS8_17counting_iteratorImNS8_11use_defaultESC_SC_EESC_SC_EEjNS1_16block_id_wrapperIjLb0EEEEEvT_jjPNSH_10value_typeET0_PNSt15iterator_traitsISK_E10value_typeEmT1_T2_,comdat
.Lfunc_end23:
	.size	_ZN7rocprim17ROCPRIM_400000_NS6detail30init_device_scan_by_key_kernelINS1_19lookback_scan_stateINS0_5tupleIJibEEELb1ELb1EEEN6thrust23THRUST_200600_302600_NS18transform_iteratorI9row_indexNS8_17counting_iteratorImNS8_11use_defaultESC_SC_EESC_SC_EEjNS1_16block_id_wrapperIjLb0EEEEEvT_jjPNSH_10value_typeET0_PNSt15iterator_traitsISK_E10value_typeEmT1_T2_, .Lfunc_end23-_ZN7rocprim17ROCPRIM_400000_NS6detail30init_device_scan_by_key_kernelINS1_19lookback_scan_stateINS0_5tupleIJibEEELb1ELb1EEEN6thrust23THRUST_200600_302600_NS18transform_iteratorI9row_indexNS8_17counting_iteratorImNS8_11use_defaultESC_SC_EESC_SC_EEjNS1_16block_id_wrapperIjLb0EEEEEvT_jjPNSH_10value_typeET0_PNSt15iterator_traitsISK_E10value_typeEmT1_T2_
                                        ; -- End function
	.set _ZN7rocprim17ROCPRIM_400000_NS6detail30init_device_scan_by_key_kernelINS1_19lookback_scan_stateINS0_5tupleIJibEEELb1ELb1EEEN6thrust23THRUST_200600_302600_NS18transform_iteratorI9row_indexNS8_17counting_iteratorImNS8_11use_defaultESC_SC_EESC_SC_EEjNS1_16block_id_wrapperIjLb0EEEEEvT_jjPNSH_10value_typeET0_PNSt15iterator_traitsISK_E10value_typeEmT1_T2_.num_vgpr, 18
	.set _ZN7rocprim17ROCPRIM_400000_NS6detail30init_device_scan_by_key_kernelINS1_19lookback_scan_stateINS0_5tupleIJibEEELb1ELb1EEEN6thrust23THRUST_200600_302600_NS18transform_iteratorI9row_indexNS8_17counting_iteratorImNS8_11use_defaultESC_SC_EESC_SC_EEjNS1_16block_id_wrapperIjLb0EEEEEvT_jjPNSH_10value_typeET0_PNSt15iterator_traitsISK_E10value_typeEmT1_T2_.num_agpr, 0
	.set _ZN7rocprim17ROCPRIM_400000_NS6detail30init_device_scan_by_key_kernelINS1_19lookback_scan_stateINS0_5tupleIJibEEELb1ELb1EEEN6thrust23THRUST_200600_302600_NS18transform_iteratorI9row_indexNS8_17counting_iteratorImNS8_11use_defaultESC_SC_EESC_SC_EEjNS1_16block_id_wrapperIjLb0EEEEEvT_jjPNSH_10value_typeET0_PNSt15iterator_traitsISK_E10value_typeEmT1_T2_.numbered_sgpr, 23
	.set _ZN7rocprim17ROCPRIM_400000_NS6detail30init_device_scan_by_key_kernelINS1_19lookback_scan_stateINS0_5tupleIJibEEELb1ELb1EEEN6thrust23THRUST_200600_302600_NS18transform_iteratorI9row_indexNS8_17counting_iteratorImNS8_11use_defaultESC_SC_EESC_SC_EEjNS1_16block_id_wrapperIjLb0EEEEEvT_jjPNSH_10value_typeET0_PNSt15iterator_traitsISK_E10value_typeEmT1_T2_.num_named_barrier, 0
	.set _ZN7rocprim17ROCPRIM_400000_NS6detail30init_device_scan_by_key_kernelINS1_19lookback_scan_stateINS0_5tupleIJibEEELb1ELb1EEEN6thrust23THRUST_200600_302600_NS18transform_iteratorI9row_indexNS8_17counting_iteratorImNS8_11use_defaultESC_SC_EESC_SC_EEjNS1_16block_id_wrapperIjLb0EEEEEvT_jjPNSH_10value_typeET0_PNSt15iterator_traitsISK_E10value_typeEmT1_T2_.private_seg_size, 0
	.set _ZN7rocprim17ROCPRIM_400000_NS6detail30init_device_scan_by_key_kernelINS1_19lookback_scan_stateINS0_5tupleIJibEEELb1ELb1EEEN6thrust23THRUST_200600_302600_NS18transform_iteratorI9row_indexNS8_17counting_iteratorImNS8_11use_defaultESC_SC_EESC_SC_EEjNS1_16block_id_wrapperIjLb0EEEEEvT_jjPNSH_10value_typeET0_PNSt15iterator_traitsISK_E10value_typeEmT1_T2_.uses_vcc, 1
	.set _ZN7rocprim17ROCPRIM_400000_NS6detail30init_device_scan_by_key_kernelINS1_19lookback_scan_stateINS0_5tupleIJibEEELb1ELb1EEEN6thrust23THRUST_200600_302600_NS18transform_iteratorI9row_indexNS8_17counting_iteratorImNS8_11use_defaultESC_SC_EESC_SC_EEjNS1_16block_id_wrapperIjLb0EEEEEvT_jjPNSH_10value_typeET0_PNSt15iterator_traitsISK_E10value_typeEmT1_T2_.uses_flat_scratch, 0
	.set _ZN7rocprim17ROCPRIM_400000_NS6detail30init_device_scan_by_key_kernelINS1_19lookback_scan_stateINS0_5tupleIJibEEELb1ELb1EEEN6thrust23THRUST_200600_302600_NS18transform_iteratorI9row_indexNS8_17counting_iteratorImNS8_11use_defaultESC_SC_EESC_SC_EEjNS1_16block_id_wrapperIjLb0EEEEEvT_jjPNSH_10value_typeET0_PNSt15iterator_traitsISK_E10value_typeEmT1_T2_.has_dyn_sized_stack, 0
	.set _ZN7rocprim17ROCPRIM_400000_NS6detail30init_device_scan_by_key_kernelINS1_19lookback_scan_stateINS0_5tupleIJibEEELb1ELb1EEEN6thrust23THRUST_200600_302600_NS18transform_iteratorI9row_indexNS8_17counting_iteratorImNS8_11use_defaultESC_SC_EESC_SC_EEjNS1_16block_id_wrapperIjLb0EEEEEvT_jjPNSH_10value_typeET0_PNSt15iterator_traitsISK_E10value_typeEmT1_T2_.has_recursion, 0
	.set _ZN7rocprim17ROCPRIM_400000_NS6detail30init_device_scan_by_key_kernelINS1_19lookback_scan_stateINS0_5tupleIJibEEELb1ELb1EEEN6thrust23THRUST_200600_302600_NS18transform_iteratorI9row_indexNS8_17counting_iteratorImNS8_11use_defaultESC_SC_EESC_SC_EEjNS1_16block_id_wrapperIjLb0EEEEEvT_jjPNSH_10value_typeET0_PNSt15iterator_traitsISK_E10value_typeEmT1_T2_.has_indirect_call, 0
	.section	.AMDGPU.csdata,"",@progbits
; Kernel info:
; codeLenInByte = 1268
; TotalNumSgprs: 27
; NumVgprs: 18
; ScratchSize: 0
; MemoryBound: 0
; FloatMode: 240
; IeeeMode: 1
; LDSByteSize: 0 bytes/workgroup (compile time only)
; SGPRBlocks: 3
; VGPRBlocks: 4
; NumSGPRsForWavesPerEU: 27
; NumVGPRsForWavesPerEU: 18
; Occupancy: 10
; WaveLimiterHint : 0
; COMPUTE_PGM_RSRC2:SCRATCH_EN: 0
; COMPUTE_PGM_RSRC2:USER_SGPR: 6
; COMPUTE_PGM_RSRC2:TRAP_HANDLER: 0
; COMPUTE_PGM_RSRC2:TGID_X_EN: 1
; COMPUTE_PGM_RSRC2:TGID_Y_EN: 0
; COMPUTE_PGM_RSRC2:TGID_Z_EN: 0
; COMPUTE_PGM_RSRC2:TIDIG_COMP_CNT: 0
	.section	.text._ZN7rocprim17ROCPRIM_400000_NS6detail30init_device_scan_by_key_kernelINS1_19lookback_scan_stateINS0_5tupleIJibEEELb1ELb1EEENS1_16block_id_wrapperIjLb0EEEEEvT_jjPNS9_10value_typeET0_,"axG",@progbits,_ZN7rocprim17ROCPRIM_400000_NS6detail30init_device_scan_by_key_kernelINS1_19lookback_scan_stateINS0_5tupleIJibEEELb1ELb1EEENS1_16block_id_wrapperIjLb0EEEEEvT_jjPNS9_10value_typeET0_,comdat
	.protected	_ZN7rocprim17ROCPRIM_400000_NS6detail30init_device_scan_by_key_kernelINS1_19lookback_scan_stateINS0_5tupleIJibEEELb1ELb1EEENS1_16block_id_wrapperIjLb0EEEEEvT_jjPNS9_10value_typeET0_ ; -- Begin function _ZN7rocprim17ROCPRIM_400000_NS6detail30init_device_scan_by_key_kernelINS1_19lookback_scan_stateINS0_5tupleIJibEEELb1ELb1EEENS1_16block_id_wrapperIjLb0EEEEEvT_jjPNS9_10value_typeET0_
	.globl	_ZN7rocprim17ROCPRIM_400000_NS6detail30init_device_scan_by_key_kernelINS1_19lookback_scan_stateINS0_5tupleIJibEEELb1ELb1EEENS1_16block_id_wrapperIjLb0EEEEEvT_jjPNS9_10value_typeET0_
	.p2align	8
	.type	_ZN7rocprim17ROCPRIM_400000_NS6detail30init_device_scan_by_key_kernelINS1_19lookback_scan_stateINS0_5tupleIJibEEELb1ELb1EEENS1_16block_id_wrapperIjLb0EEEEEvT_jjPNS9_10value_typeET0_,@function
_ZN7rocprim17ROCPRIM_400000_NS6detail30init_device_scan_by_key_kernelINS1_19lookback_scan_stateINS0_5tupleIJibEEELb1ELb1EEENS1_16block_id_wrapperIjLb0EEEEEvT_jjPNS9_10value_typeET0_: ; @_ZN7rocprim17ROCPRIM_400000_NS6detail30init_device_scan_by_key_kernelINS1_19lookback_scan_stateINS0_5tupleIJibEEELb1ELb1EEENS1_16block_id_wrapperIjLb0EEEEEvT_jjPNS9_10value_typeET0_
; %bb.0:
	s_load_dword s7, s[4:5], 0x2c
	s_load_dwordx2 s[8:9], s[4:5], 0x10
	s_load_dwordx4 s[0:3], s[4:5], 0x0
	s_waitcnt lgkmcnt(0)
	s_and_b32 s4, s7, 0xffff
	s_mul_i32 s6, s6, s4
	s_cmp_eq_u64 s[8:9], 0
	v_add_u32_e32 v0, s6, v0
	s_cbranch_scc1 .LBB24_10
; %bb.1:
	s_cmp_lt_u32 s3, s2
	s_cselect_b32 s4, s3, 0
	s_mov_b32 s7, 0
	v_cmp_eq_u32_e32 vcc, s4, v0
	s_and_saveexec_b64 s[4:5], vcc
	s_cbranch_execz .LBB24_9
; %bb.2:
	s_add_i32 s6, s3, 64
	s_lshl_b64 s[6:7], s[6:7], 4
	s_add_u32 s12, s0, s6
	s_addc_u32 s13, s1, s7
	v_mov_b32_e32 v1, s12
	v_mov_b32_e32 v2, s13
	;;#ASMSTART
	global_load_dwordx4 v[1:4], v[1:2] off glc	
s_waitcnt vmcnt(0)
	;;#ASMEND
	v_and_b32_e32 v4, 0xff, v3
	v_mov_b32_e32 v5, 0
	v_cmp_eq_u64_e32 vcc, 0, v[4:5]
	s_mov_b64 s[10:11], 0
	s_and_saveexec_b64 s[6:7], vcc
	s_cbranch_execz .LBB24_8
; %bb.3:
	v_mov_b32_e32 v6, s12
	s_mov_b32 s3, 1
	v_mov_b32_e32 v7, s13
.LBB24_4:                               ; =>This Loop Header: Depth=1
                                        ;     Child Loop BB24_5 Depth 2
	s_mov_b32 s12, s3
.LBB24_5:                               ;   Parent Loop BB24_4 Depth=1
                                        ; =>  This Inner Loop Header: Depth=2
	s_add_i32 s12, s12, -1
	s_cmp_eq_u32 s12, 0
	s_sleep 1
	s_cbranch_scc0 .LBB24_5
; %bb.6:                                ;   in Loop: Header=BB24_4 Depth=1
	s_cmp_lt_u32 s3, 32
	;;#ASMSTART
	global_load_dwordx4 v[1:4], v[6:7] off glc	
s_waitcnt vmcnt(0)
	;;#ASMEND
	s_cselect_b64 s[12:13], -1, 0
	v_and_b32_e32 v4, 0xff, v3
	s_cmp_lg_u64 s[12:13], 0
	v_cmp_ne_u64_e32 vcc, 0, v[4:5]
	s_addc_u32 s3, s3, 0
	s_or_b64 s[10:11], vcc, s[10:11]
	s_andn2_b64 exec, exec, s[10:11]
	s_cbranch_execnz .LBB24_4
; %bb.7:
	s_or_b64 exec, exec, s[10:11]
.LBB24_8:
	s_or_b64 exec, exec, s[6:7]
	v_mov_b32_e32 v3, 0
	global_store_dword v3, v1, s[8:9]
	global_store_byte v3, v2, s[8:9] offset:4
.LBB24_9:
	s_or_b64 exec, exec, s[4:5]
.LBB24_10:
	v_cmp_gt_u32_e32 vcc, s2, v0
	s_and_saveexec_b64 s[2:3], vcc
	s_cbranch_execnz .LBB24_13
; %bb.11:
	s_or_b64 exec, exec, s[2:3]
	v_cmp_gt_u32_e32 vcc, 64, v0
	s_and_saveexec_b64 s[2:3], vcc
	s_cbranch_execnz .LBB24_14
.LBB24_12:
	s_endpgm
.LBB24_13:
	v_add_u32_e32 v1, 64, v0
	v_mov_b32_e32 v2, 0
	v_lshlrev_b64 v[3:4], 4, v[1:2]
	v_mov_b32_e32 v1, s1
	v_add_co_u32_e32 v5, vcc, s0, v3
	v_addc_co_u32_e32 v6, vcc, v1, v4, vcc
	v_mov_b32_e32 v1, v2
	v_mov_b32_e32 v3, v2
	;; [unrolled: 1-line block ×3, first 2 shown]
	global_store_dwordx4 v[5:6], v[1:4], off
	s_or_b64 exec, exec, s[2:3]
	v_cmp_gt_u32_e32 vcc, 64, v0
	s_and_saveexec_b64 s[2:3], vcc
	s_cbranch_execz .LBB24_12
.LBB24_14:
	v_mov_b32_e32 v1, 0
	v_lshlrev_b64 v[2:3], 4, v[0:1]
	v_mov_b32_e32 v0, s1
	v_add_co_u32_e32 v4, vcc, s0, v2
	v_addc_co_u32_e32 v5, vcc, v0, v3, vcc
	v_mov_b32_e32 v2, 0xff
	v_mov_b32_e32 v0, v1
	v_mov_b32_e32 v3, v1
	global_store_dwordx4 v[4:5], v[0:3], off
	s_endpgm
	.section	.rodata,"a",@progbits
	.p2align	6, 0x0
	.amdhsa_kernel _ZN7rocprim17ROCPRIM_400000_NS6detail30init_device_scan_by_key_kernelINS1_19lookback_scan_stateINS0_5tupleIJibEEELb1ELb1EEENS1_16block_id_wrapperIjLb0EEEEEvT_jjPNS9_10value_typeET0_
		.amdhsa_group_segment_fixed_size 0
		.amdhsa_private_segment_fixed_size 0
		.amdhsa_kernarg_size 288
		.amdhsa_user_sgpr_count 6
		.amdhsa_user_sgpr_private_segment_buffer 1
		.amdhsa_user_sgpr_dispatch_ptr 0
		.amdhsa_user_sgpr_queue_ptr 0
		.amdhsa_user_sgpr_kernarg_segment_ptr 1
		.amdhsa_user_sgpr_dispatch_id 0
		.amdhsa_user_sgpr_flat_scratch_init 0
		.amdhsa_user_sgpr_private_segment_size 0
		.amdhsa_uses_dynamic_stack 0
		.amdhsa_system_sgpr_private_segment_wavefront_offset 0
		.amdhsa_system_sgpr_workgroup_id_x 1
		.amdhsa_system_sgpr_workgroup_id_y 0
		.amdhsa_system_sgpr_workgroup_id_z 0
		.amdhsa_system_sgpr_workgroup_info 0
		.amdhsa_system_vgpr_workitem_id 0
		.amdhsa_next_free_vgpr 8
		.amdhsa_next_free_sgpr 14
		.amdhsa_reserve_vcc 1
		.amdhsa_reserve_flat_scratch 0
		.amdhsa_float_round_mode_32 0
		.amdhsa_float_round_mode_16_64 0
		.amdhsa_float_denorm_mode_32 3
		.amdhsa_float_denorm_mode_16_64 3
		.amdhsa_dx10_clamp 1
		.amdhsa_ieee_mode 1
		.amdhsa_fp16_overflow 0
		.amdhsa_exception_fp_ieee_invalid_op 0
		.amdhsa_exception_fp_denorm_src 0
		.amdhsa_exception_fp_ieee_div_zero 0
		.amdhsa_exception_fp_ieee_overflow 0
		.amdhsa_exception_fp_ieee_underflow 0
		.amdhsa_exception_fp_ieee_inexact 0
		.amdhsa_exception_int_div_zero 0
	.end_amdhsa_kernel
	.section	.text._ZN7rocprim17ROCPRIM_400000_NS6detail30init_device_scan_by_key_kernelINS1_19lookback_scan_stateINS0_5tupleIJibEEELb1ELb1EEENS1_16block_id_wrapperIjLb0EEEEEvT_jjPNS9_10value_typeET0_,"axG",@progbits,_ZN7rocprim17ROCPRIM_400000_NS6detail30init_device_scan_by_key_kernelINS1_19lookback_scan_stateINS0_5tupleIJibEEELb1ELb1EEENS1_16block_id_wrapperIjLb0EEEEEvT_jjPNS9_10value_typeET0_,comdat
.Lfunc_end24:
	.size	_ZN7rocprim17ROCPRIM_400000_NS6detail30init_device_scan_by_key_kernelINS1_19lookback_scan_stateINS0_5tupleIJibEEELb1ELb1EEENS1_16block_id_wrapperIjLb0EEEEEvT_jjPNS9_10value_typeET0_, .Lfunc_end24-_ZN7rocprim17ROCPRIM_400000_NS6detail30init_device_scan_by_key_kernelINS1_19lookback_scan_stateINS0_5tupleIJibEEELb1ELb1EEENS1_16block_id_wrapperIjLb0EEEEEvT_jjPNS9_10value_typeET0_
                                        ; -- End function
	.set _ZN7rocprim17ROCPRIM_400000_NS6detail30init_device_scan_by_key_kernelINS1_19lookback_scan_stateINS0_5tupleIJibEEELb1ELb1EEENS1_16block_id_wrapperIjLb0EEEEEvT_jjPNS9_10value_typeET0_.num_vgpr, 8
	.set _ZN7rocprim17ROCPRIM_400000_NS6detail30init_device_scan_by_key_kernelINS1_19lookback_scan_stateINS0_5tupleIJibEEELb1ELb1EEENS1_16block_id_wrapperIjLb0EEEEEvT_jjPNS9_10value_typeET0_.num_agpr, 0
	.set _ZN7rocprim17ROCPRIM_400000_NS6detail30init_device_scan_by_key_kernelINS1_19lookback_scan_stateINS0_5tupleIJibEEELb1ELb1EEENS1_16block_id_wrapperIjLb0EEEEEvT_jjPNS9_10value_typeET0_.numbered_sgpr, 14
	.set _ZN7rocprim17ROCPRIM_400000_NS6detail30init_device_scan_by_key_kernelINS1_19lookback_scan_stateINS0_5tupleIJibEEELb1ELb1EEENS1_16block_id_wrapperIjLb0EEEEEvT_jjPNS9_10value_typeET0_.num_named_barrier, 0
	.set _ZN7rocprim17ROCPRIM_400000_NS6detail30init_device_scan_by_key_kernelINS1_19lookback_scan_stateINS0_5tupleIJibEEELb1ELb1EEENS1_16block_id_wrapperIjLb0EEEEEvT_jjPNS9_10value_typeET0_.private_seg_size, 0
	.set _ZN7rocprim17ROCPRIM_400000_NS6detail30init_device_scan_by_key_kernelINS1_19lookback_scan_stateINS0_5tupleIJibEEELb1ELb1EEENS1_16block_id_wrapperIjLb0EEEEEvT_jjPNS9_10value_typeET0_.uses_vcc, 1
	.set _ZN7rocprim17ROCPRIM_400000_NS6detail30init_device_scan_by_key_kernelINS1_19lookback_scan_stateINS0_5tupleIJibEEELb1ELb1EEENS1_16block_id_wrapperIjLb0EEEEEvT_jjPNS9_10value_typeET0_.uses_flat_scratch, 0
	.set _ZN7rocprim17ROCPRIM_400000_NS6detail30init_device_scan_by_key_kernelINS1_19lookback_scan_stateINS0_5tupleIJibEEELb1ELb1EEENS1_16block_id_wrapperIjLb0EEEEEvT_jjPNS9_10value_typeET0_.has_dyn_sized_stack, 0
	.set _ZN7rocprim17ROCPRIM_400000_NS6detail30init_device_scan_by_key_kernelINS1_19lookback_scan_stateINS0_5tupleIJibEEELb1ELb1EEENS1_16block_id_wrapperIjLb0EEEEEvT_jjPNS9_10value_typeET0_.has_recursion, 0
	.set _ZN7rocprim17ROCPRIM_400000_NS6detail30init_device_scan_by_key_kernelINS1_19lookback_scan_stateINS0_5tupleIJibEEELb1ELb1EEENS1_16block_id_wrapperIjLb0EEEEEvT_jjPNS9_10value_typeET0_.has_indirect_call, 0
	.section	.AMDGPU.csdata,"",@progbits
; Kernel info:
; codeLenInByte = 412
; TotalNumSgprs: 18
; NumVgprs: 8
; ScratchSize: 0
; MemoryBound: 0
; FloatMode: 240
; IeeeMode: 1
; LDSByteSize: 0 bytes/workgroup (compile time only)
; SGPRBlocks: 2
; VGPRBlocks: 1
; NumSGPRsForWavesPerEU: 18
; NumVGPRsForWavesPerEU: 8
; Occupancy: 10
; WaveLimiterHint : 0
; COMPUTE_PGM_RSRC2:SCRATCH_EN: 0
; COMPUTE_PGM_RSRC2:USER_SGPR: 6
; COMPUTE_PGM_RSRC2:TRAP_HANDLER: 0
; COMPUTE_PGM_RSRC2:TGID_X_EN: 1
; COMPUTE_PGM_RSRC2:TGID_Y_EN: 0
; COMPUTE_PGM_RSRC2:TGID_Z_EN: 0
; COMPUTE_PGM_RSRC2:TIDIG_COMP_CNT: 0
	.section	.text._ZN7rocprim17ROCPRIM_400000_NS6detail17trampoline_kernelINS0_14default_configENS1_27scan_by_key_config_selectorImiEEZZNS1_16scan_by_key_implILNS1_25lookback_scan_determinismE0ELb0ES3_N6thrust23THRUST_200600_302600_NS18transform_iteratorI9row_indexNS9_17counting_iteratorImNS9_11use_defaultESD_SD_EESD_SD_EENS9_6detail15normal_iteratorINS9_10device_ptrIiEEEESK_iNS9_4plusIvEENS9_8equal_toIvEEiEE10hipError_tPvRmT2_T3_T4_T5_mT6_T7_P12ihipStream_tbENKUlT_T0_E_clISt17integral_constantIbLb1EES14_IbLb0EEEEDaS10_S11_EUlS10_E_NS1_11comp_targetILNS1_3genE0ELNS1_11target_archE4294967295ELNS1_3gpuE0ELNS1_3repE0EEENS1_30default_config_static_selectorELNS0_4arch9wavefront6targetE1EEEvT1_,"axG",@progbits,_ZN7rocprim17ROCPRIM_400000_NS6detail17trampoline_kernelINS0_14default_configENS1_27scan_by_key_config_selectorImiEEZZNS1_16scan_by_key_implILNS1_25lookback_scan_determinismE0ELb0ES3_N6thrust23THRUST_200600_302600_NS18transform_iteratorI9row_indexNS9_17counting_iteratorImNS9_11use_defaultESD_SD_EESD_SD_EENS9_6detail15normal_iteratorINS9_10device_ptrIiEEEESK_iNS9_4plusIvEENS9_8equal_toIvEEiEE10hipError_tPvRmT2_T3_T4_T5_mT6_T7_P12ihipStream_tbENKUlT_T0_E_clISt17integral_constantIbLb1EES14_IbLb0EEEEDaS10_S11_EUlS10_E_NS1_11comp_targetILNS1_3genE0ELNS1_11target_archE4294967295ELNS1_3gpuE0ELNS1_3repE0EEENS1_30default_config_static_selectorELNS0_4arch9wavefront6targetE1EEEvT1_,comdat
	.protected	_ZN7rocprim17ROCPRIM_400000_NS6detail17trampoline_kernelINS0_14default_configENS1_27scan_by_key_config_selectorImiEEZZNS1_16scan_by_key_implILNS1_25lookback_scan_determinismE0ELb0ES3_N6thrust23THRUST_200600_302600_NS18transform_iteratorI9row_indexNS9_17counting_iteratorImNS9_11use_defaultESD_SD_EESD_SD_EENS9_6detail15normal_iteratorINS9_10device_ptrIiEEEESK_iNS9_4plusIvEENS9_8equal_toIvEEiEE10hipError_tPvRmT2_T3_T4_T5_mT6_T7_P12ihipStream_tbENKUlT_T0_E_clISt17integral_constantIbLb1EES14_IbLb0EEEEDaS10_S11_EUlS10_E_NS1_11comp_targetILNS1_3genE0ELNS1_11target_archE4294967295ELNS1_3gpuE0ELNS1_3repE0EEENS1_30default_config_static_selectorELNS0_4arch9wavefront6targetE1EEEvT1_ ; -- Begin function _ZN7rocprim17ROCPRIM_400000_NS6detail17trampoline_kernelINS0_14default_configENS1_27scan_by_key_config_selectorImiEEZZNS1_16scan_by_key_implILNS1_25lookback_scan_determinismE0ELb0ES3_N6thrust23THRUST_200600_302600_NS18transform_iteratorI9row_indexNS9_17counting_iteratorImNS9_11use_defaultESD_SD_EESD_SD_EENS9_6detail15normal_iteratorINS9_10device_ptrIiEEEESK_iNS9_4plusIvEENS9_8equal_toIvEEiEE10hipError_tPvRmT2_T3_T4_T5_mT6_T7_P12ihipStream_tbENKUlT_T0_E_clISt17integral_constantIbLb1EES14_IbLb0EEEEDaS10_S11_EUlS10_E_NS1_11comp_targetILNS1_3genE0ELNS1_11target_archE4294967295ELNS1_3gpuE0ELNS1_3repE0EEENS1_30default_config_static_selectorELNS0_4arch9wavefront6targetE1EEEvT1_
	.globl	_ZN7rocprim17ROCPRIM_400000_NS6detail17trampoline_kernelINS0_14default_configENS1_27scan_by_key_config_selectorImiEEZZNS1_16scan_by_key_implILNS1_25lookback_scan_determinismE0ELb0ES3_N6thrust23THRUST_200600_302600_NS18transform_iteratorI9row_indexNS9_17counting_iteratorImNS9_11use_defaultESD_SD_EESD_SD_EENS9_6detail15normal_iteratorINS9_10device_ptrIiEEEESK_iNS9_4plusIvEENS9_8equal_toIvEEiEE10hipError_tPvRmT2_T3_T4_T5_mT6_T7_P12ihipStream_tbENKUlT_T0_E_clISt17integral_constantIbLb1EES14_IbLb0EEEEDaS10_S11_EUlS10_E_NS1_11comp_targetILNS1_3genE0ELNS1_11target_archE4294967295ELNS1_3gpuE0ELNS1_3repE0EEENS1_30default_config_static_selectorELNS0_4arch9wavefront6targetE1EEEvT1_
	.p2align	8
	.type	_ZN7rocprim17ROCPRIM_400000_NS6detail17trampoline_kernelINS0_14default_configENS1_27scan_by_key_config_selectorImiEEZZNS1_16scan_by_key_implILNS1_25lookback_scan_determinismE0ELb0ES3_N6thrust23THRUST_200600_302600_NS18transform_iteratorI9row_indexNS9_17counting_iteratorImNS9_11use_defaultESD_SD_EESD_SD_EENS9_6detail15normal_iteratorINS9_10device_ptrIiEEEESK_iNS9_4plusIvEENS9_8equal_toIvEEiEE10hipError_tPvRmT2_T3_T4_T5_mT6_T7_P12ihipStream_tbENKUlT_T0_E_clISt17integral_constantIbLb1EES14_IbLb0EEEEDaS10_S11_EUlS10_E_NS1_11comp_targetILNS1_3genE0ELNS1_11target_archE4294967295ELNS1_3gpuE0ELNS1_3repE0EEENS1_30default_config_static_selectorELNS0_4arch9wavefront6targetE1EEEvT1_,@function
_ZN7rocprim17ROCPRIM_400000_NS6detail17trampoline_kernelINS0_14default_configENS1_27scan_by_key_config_selectorImiEEZZNS1_16scan_by_key_implILNS1_25lookback_scan_determinismE0ELb0ES3_N6thrust23THRUST_200600_302600_NS18transform_iteratorI9row_indexNS9_17counting_iteratorImNS9_11use_defaultESD_SD_EESD_SD_EENS9_6detail15normal_iteratorINS9_10device_ptrIiEEEESK_iNS9_4plusIvEENS9_8equal_toIvEEiEE10hipError_tPvRmT2_T3_T4_T5_mT6_T7_P12ihipStream_tbENKUlT_T0_E_clISt17integral_constantIbLb1EES14_IbLb0EEEEDaS10_S11_EUlS10_E_NS1_11comp_targetILNS1_3genE0ELNS1_11target_archE4294967295ELNS1_3gpuE0ELNS1_3repE0EEENS1_30default_config_static_selectorELNS0_4arch9wavefront6targetE1EEEvT1_: ; @_ZN7rocprim17ROCPRIM_400000_NS6detail17trampoline_kernelINS0_14default_configENS1_27scan_by_key_config_selectorImiEEZZNS1_16scan_by_key_implILNS1_25lookback_scan_determinismE0ELb0ES3_N6thrust23THRUST_200600_302600_NS18transform_iteratorI9row_indexNS9_17counting_iteratorImNS9_11use_defaultESD_SD_EESD_SD_EENS9_6detail15normal_iteratorINS9_10device_ptrIiEEEESK_iNS9_4plusIvEENS9_8equal_toIvEEiEE10hipError_tPvRmT2_T3_T4_T5_mT6_T7_P12ihipStream_tbENKUlT_T0_E_clISt17integral_constantIbLb1EES14_IbLb0EEEEDaS10_S11_EUlS10_E_NS1_11comp_targetILNS1_3genE0ELNS1_11target_archE4294967295ELNS1_3gpuE0ELNS1_3repE0EEENS1_30default_config_static_selectorELNS0_4arch9wavefront6targetE1EEEvT1_
; %bb.0:
	.section	.rodata,"a",@progbits
	.p2align	6, 0x0
	.amdhsa_kernel _ZN7rocprim17ROCPRIM_400000_NS6detail17trampoline_kernelINS0_14default_configENS1_27scan_by_key_config_selectorImiEEZZNS1_16scan_by_key_implILNS1_25lookback_scan_determinismE0ELb0ES3_N6thrust23THRUST_200600_302600_NS18transform_iteratorI9row_indexNS9_17counting_iteratorImNS9_11use_defaultESD_SD_EESD_SD_EENS9_6detail15normal_iteratorINS9_10device_ptrIiEEEESK_iNS9_4plusIvEENS9_8equal_toIvEEiEE10hipError_tPvRmT2_T3_T4_T5_mT6_T7_P12ihipStream_tbENKUlT_T0_E_clISt17integral_constantIbLb1EES14_IbLb0EEEEDaS10_S11_EUlS10_E_NS1_11comp_targetILNS1_3genE0ELNS1_11target_archE4294967295ELNS1_3gpuE0ELNS1_3repE0EEENS1_30default_config_static_selectorELNS0_4arch9wavefront6targetE1EEEvT1_
		.amdhsa_group_segment_fixed_size 0
		.amdhsa_private_segment_fixed_size 0
		.amdhsa_kernarg_size 120
		.amdhsa_user_sgpr_count 6
		.amdhsa_user_sgpr_private_segment_buffer 1
		.amdhsa_user_sgpr_dispatch_ptr 0
		.amdhsa_user_sgpr_queue_ptr 0
		.amdhsa_user_sgpr_kernarg_segment_ptr 1
		.amdhsa_user_sgpr_dispatch_id 0
		.amdhsa_user_sgpr_flat_scratch_init 0
		.amdhsa_user_sgpr_private_segment_size 0
		.amdhsa_uses_dynamic_stack 0
		.amdhsa_system_sgpr_private_segment_wavefront_offset 0
		.amdhsa_system_sgpr_workgroup_id_x 1
		.amdhsa_system_sgpr_workgroup_id_y 0
		.amdhsa_system_sgpr_workgroup_id_z 0
		.amdhsa_system_sgpr_workgroup_info 0
		.amdhsa_system_vgpr_workitem_id 0
		.amdhsa_next_free_vgpr 1
		.amdhsa_next_free_sgpr 0
		.amdhsa_reserve_vcc 0
		.amdhsa_reserve_flat_scratch 0
		.amdhsa_float_round_mode_32 0
		.amdhsa_float_round_mode_16_64 0
		.amdhsa_float_denorm_mode_32 3
		.amdhsa_float_denorm_mode_16_64 3
		.amdhsa_dx10_clamp 1
		.amdhsa_ieee_mode 1
		.amdhsa_fp16_overflow 0
		.amdhsa_exception_fp_ieee_invalid_op 0
		.amdhsa_exception_fp_denorm_src 0
		.amdhsa_exception_fp_ieee_div_zero 0
		.amdhsa_exception_fp_ieee_overflow 0
		.amdhsa_exception_fp_ieee_underflow 0
		.amdhsa_exception_fp_ieee_inexact 0
		.amdhsa_exception_int_div_zero 0
	.end_amdhsa_kernel
	.section	.text._ZN7rocprim17ROCPRIM_400000_NS6detail17trampoline_kernelINS0_14default_configENS1_27scan_by_key_config_selectorImiEEZZNS1_16scan_by_key_implILNS1_25lookback_scan_determinismE0ELb0ES3_N6thrust23THRUST_200600_302600_NS18transform_iteratorI9row_indexNS9_17counting_iteratorImNS9_11use_defaultESD_SD_EESD_SD_EENS9_6detail15normal_iteratorINS9_10device_ptrIiEEEESK_iNS9_4plusIvEENS9_8equal_toIvEEiEE10hipError_tPvRmT2_T3_T4_T5_mT6_T7_P12ihipStream_tbENKUlT_T0_E_clISt17integral_constantIbLb1EES14_IbLb0EEEEDaS10_S11_EUlS10_E_NS1_11comp_targetILNS1_3genE0ELNS1_11target_archE4294967295ELNS1_3gpuE0ELNS1_3repE0EEENS1_30default_config_static_selectorELNS0_4arch9wavefront6targetE1EEEvT1_,"axG",@progbits,_ZN7rocprim17ROCPRIM_400000_NS6detail17trampoline_kernelINS0_14default_configENS1_27scan_by_key_config_selectorImiEEZZNS1_16scan_by_key_implILNS1_25lookback_scan_determinismE0ELb0ES3_N6thrust23THRUST_200600_302600_NS18transform_iteratorI9row_indexNS9_17counting_iteratorImNS9_11use_defaultESD_SD_EESD_SD_EENS9_6detail15normal_iteratorINS9_10device_ptrIiEEEESK_iNS9_4plusIvEENS9_8equal_toIvEEiEE10hipError_tPvRmT2_T3_T4_T5_mT6_T7_P12ihipStream_tbENKUlT_T0_E_clISt17integral_constantIbLb1EES14_IbLb0EEEEDaS10_S11_EUlS10_E_NS1_11comp_targetILNS1_3genE0ELNS1_11target_archE4294967295ELNS1_3gpuE0ELNS1_3repE0EEENS1_30default_config_static_selectorELNS0_4arch9wavefront6targetE1EEEvT1_,comdat
.Lfunc_end25:
	.size	_ZN7rocprim17ROCPRIM_400000_NS6detail17trampoline_kernelINS0_14default_configENS1_27scan_by_key_config_selectorImiEEZZNS1_16scan_by_key_implILNS1_25lookback_scan_determinismE0ELb0ES3_N6thrust23THRUST_200600_302600_NS18transform_iteratorI9row_indexNS9_17counting_iteratorImNS9_11use_defaultESD_SD_EESD_SD_EENS9_6detail15normal_iteratorINS9_10device_ptrIiEEEESK_iNS9_4plusIvEENS9_8equal_toIvEEiEE10hipError_tPvRmT2_T3_T4_T5_mT6_T7_P12ihipStream_tbENKUlT_T0_E_clISt17integral_constantIbLb1EES14_IbLb0EEEEDaS10_S11_EUlS10_E_NS1_11comp_targetILNS1_3genE0ELNS1_11target_archE4294967295ELNS1_3gpuE0ELNS1_3repE0EEENS1_30default_config_static_selectorELNS0_4arch9wavefront6targetE1EEEvT1_, .Lfunc_end25-_ZN7rocprim17ROCPRIM_400000_NS6detail17trampoline_kernelINS0_14default_configENS1_27scan_by_key_config_selectorImiEEZZNS1_16scan_by_key_implILNS1_25lookback_scan_determinismE0ELb0ES3_N6thrust23THRUST_200600_302600_NS18transform_iteratorI9row_indexNS9_17counting_iteratorImNS9_11use_defaultESD_SD_EESD_SD_EENS9_6detail15normal_iteratorINS9_10device_ptrIiEEEESK_iNS9_4plusIvEENS9_8equal_toIvEEiEE10hipError_tPvRmT2_T3_T4_T5_mT6_T7_P12ihipStream_tbENKUlT_T0_E_clISt17integral_constantIbLb1EES14_IbLb0EEEEDaS10_S11_EUlS10_E_NS1_11comp_targetILNS1_3genE0ELNS1_11target_archE4294967295ELNS1_3gpuE0ELNS1_3repE0EEENS1_30default_config_static_selectorELNS0_4arch9wavefront6targetE1EEEvT1_
                                        ; -- End function
	.set _ZN7rocprim17ROCPRIM_400000_NS6detail17trampoline_kernelINS0_14default_configENS1_27scan_by_key_config_selectorImiEEZZNS1_16scan_by_key_implILNS1_25lookback_scan_determinismE0ELb0ES3_N6thrust23THRUST_200600_302600_NS18transform_iteratorI9row_indexNS9_17counting_iteratorImNS9_11use_defaultESD_SD_EESD_SD_EENS9_6detail15normal_iteratorINS9_10device_ptrIiEEEESK_iNS9_4plusIvEENS9_8equal_toIvEEiEE10hipError_tPvRmT2_T3_T4_T5_mT6_T7_P12ihipStream_tbENKUlT_T0_E_clISt17integral_constantIbLb1EES14_IbLb0EEEEDaS10_S11_EUlS10_E_NS1_11comp_targetILNS1_3genE0ELNS1_11target_archE4294967295ELNS1_3gpuE0ELNS1_3repE0EEENS1_30default_config_static_selectorELNS0_4arch9wavefront6targetE1EEEvT1_.num_vgpr, 0
	.set _ZN7rocprim17ROCPRIM_400000_NS6detail17trampoline_kernelINS0_14default_configENS1_27scan_by_key_config_selectorImiEEZZNS1_16scan_by_key_implILNS1_25lookback_scan_determinismE0ELb0ES3_N6thrust23THRUST_200600_302600_NS18transform_iteratorI9row_indexNS9_17counting_iteratorImNS9_11use_defaultESD_SD_EESD_SD_EENS9_6detail15normal_iteratorINS9_10device_ptrIiEEEESK_iNS9_4plusIvEENS9_8equal_toIvEEiEE10hipError_tPvRmT2_T3_T4_T5_mT6_T7_P12ihipStream_tbENKUlT_T0_E_clISt17integral_constantIbLb1EES14_IbLb0EEEEDaS10_S11_EUlS10_E_NS1_11comp_targetILNS1_3genE0ELNS1_11target_archE4294967295ELNS1_3gpuE0ELNS1_3repE0EEENS1_30default_config_static_selectorELNS0_4arch9wavefront6targetE1EEEvT1_.num_agpr, 0
	.set _ZN7rocprim17ROCPRIM_400000_NS6detail17trampoline_kernelINS0_14default_configENS1_27scan_by_key_config_selectorImiEEZZNS1_16scan_by_key_implILNS1_25lookback_scan_determinismE0ELb0ES3_N6thrust23THRUST_200600_302600_NS18transform_iteratorI9row_indexNS9_17counting_iteratorImNS9_11use_defaultESD_SD_EESD_SD_EENS9_6detail15normal_iteratorINS9_10device_ptrIiEEEESK_iNS9_4plusIvEENS9_8equal_toIvEEiEE10hipError_tPvRmT2_T3_T4_T5_mT6_T7_P12ihipStream_tbENKUlT_T0_E_clISt17integral_constantIbLb1EES14_IbLb0EEEEDaS10_S11_EUlS10_E_NS1_11comp_targetILNS1_3genE0ELNS1_11target_archE4294967295ELNS1_3gpuE0ELNS1_3repE0EEENS1_30default_config_static_selectorELNS0_4arch9wavefront6targetE1EEEvT1_.numbered_sgpr, 0
	.set _ZN7rocprim17ROCPRIM_400000_NS6detail17trampoline_kernelINS0_14default_configENS1_27scan_by_key_config_selectorImiEEZZNS1_16scan_by_key_implILNS1_25lookback_scan_determinismE0ELb0ES3_N6thrust23THRUST_200600_302600_NS18transform_iteratorI9row_indexNS9_17counting_iteratorImNS9_11use_defaultESD_SD_EESD_SD_EENS9_6detail15normal_iteratorINS9_10device_ptrIiEEEESK_iNS9_4plusIvEENS9_8equal_toIvEEiEE10hipError_tPvRmT2_T3_T4_T5_mT6_T7_P12ihipStream_tbENKUlT_T0_E_clISt17integral_constantIbLb1EES14_IbLb0EEEEDaS10_S11_EUlS10_E_NS1_11comp_targetILNS1_3genE0ELNS1_11target_archE4294967295ELNS1_3gpuE0ELNS1_3repE0EEENS1_30default_config_static_selectorELNS0_4arch9wavefront6targetE1EEEvT1_.num_named_barrier, 0
	.set _ZN7rocprim17ROCPRIM_400000_NS6detail17trampoline_kernelINS0_14default_configENS1_27scan_by_key_config_selectorImiEEZZNS1_16scan_by_key_implILNS1_25lookback_scan_determinismE0ELb0ES3_N6thrust23THRUST_200600_302600_NS18transform_iteratorI9row_indexNS9_17counting_iteratorImNS9_11use_defaultESD_SD_EESD_SD_EENS9_6detail15normal_iteratorINS9_10device_ptrIiEEEESK_iNS9_4plusIvEENS9_8equal_toIvEEiEE10hipError_tPvRmT2_T3_T4_T5_mT6_T7_P12ihipStream_tbENKUlT_T0_E_clISt17integral_constantIbLb1EES14_IbLb0EEEEDaS10_S11_EUlS10_E_NS1_11comp_targetILNS1_3genE0ELNS1_11target_archE4294967295ELNS1_3gpuE0ELNS1_3repE0EEENS1_30default_config_static_selectorELNS0_4arch9wavefront6targetE1EEEvT1_.private_seg_size, 0
	.set _ZN7rocprim17ROCPRIM_400000_NS6detail17trampoline_kernelINS0_14default_configENS1_27scan_by_key_config_selectorImiEEZZNS1_16scan_by_key_implILNS1_25lookback_scan_determinismE0ELb0ES3_N6thrust23THRUST_200600_302600_NS18transform_iteratorI9row_indexNS9_17counting_iteratorImNS9_11use_defaultESD_SD_EESD_SD_EENS9_6detail15normal_iteratorINS9_10device_ptrIiEEEESK_iNS9_4plusIvEENS9_8equal_toIvEEiEE10hipError_tPvRmT2_T3_T4_T5_mT6_T7_P12ihipStream_tbENKUlT_T0_E_clISt17integral_constantIbLb1EES14_IbLb0EEEEDaS10_S11_EUlS10_E_NS1_11comp_targetILNS1_3genE0ELNS1_11target_archE4294967295ELNS1_3gpuE0ELNS1_3repE0EEENS1_30default_config_static_selectorELNS0_4arch9wavefront6targetE1EEEvT1_.uses_vcc, 0
	.set _ZN7rocprim17ROCPRIM_400000_NS6detail17trampoline_kernelINS0_14default_configENS1_27scan_by_key_config_selectorImiEEZZNS1_16scan_by_key_implILNS1_25lookback_scan_determinismE0ELb0ES3_N6thrust23THRUST_200600_302600_NS18transform_iteratorI9row_indexNS9_17counting_iteratorImNS9_11use_defaultESD_SD_EESD_SD_EENS9_6detail15normal_iteratorINS9_10device_ptrIiEEEESK_iNS9_4plusIvEENS9_8equal_toIvEEiEE10hipError_tPvRmT2_T3_T4_T5_mT6_T7_P12ihipStream_tbENKUlT_T0_E_clISt17integral_constantIbLb1EES14_IbLb0EEEEDaS10_S11_EUlS10_E_NS1_11comp_targetILNS1_3genE0ELNS1_11target_archE4294967295ELNS1_3gpuE0ELNS1_3repE0EEENS1_30default_config_static_selectorELNS0_4arch9wavefront6targetE1EEEvT1_.uses_flat_scratch, 0
	.set _ZN7rocprim17ROCPRIM_400000_NS6detail17trampoline_kernelINS0_14default_configENS1_27scan_by_key_config_selectorImiEEZZNS1_16scan_by_key_implILNS1_25lookback_scan_determinismE0ELb0ES3_N6thrust23THRUST_200600_302600_NS18transform_iteratorI9row_indexNS9_17counting_iteratorImNS9_11use_defaultESD_SD_EESD_SD_EENS9_6detail15normal_iteratorINS9_10device_ptrIiEEEESK_iNS9_4plusIvEENS9_8equal_toIvEEiEE10hipError_tPvRmT2_T3_T4_T5_mT6_T7_P12ihipStream_tbENKUlT_T0_E_clISt17integral_constantIbLb1EES14_IbLb0EEEEDaS10_S11_EUlS10_E_NS1_11comp_targetILNS1_3genE0ELNS1_11target_archE4294967295ELNS1_3gpuE0ELNS1_3repE0EEENS1_30default_config_static_selectorELNS0_4arch9wavefront6targetE1EEEvT1_.has_dyn_sized_stack, 0
	.set _ZN7rocprim17ROCPRIM_400000_NS6detail17trampoline_kernelINS0_14default_configENS1_27scan_by_key_config_selectorImiEEZZNS1_16scan_by_key_implILNS1_25lookback_scan_determinismE0ELb0ES3_N6thrust23THRUST_200600_302600_NS18transform_iteratorI9row_indexNS9_17counting_iteratorImNS9_11use_defaultESD_SD_EESD_SD_EENS9_6detail15normal_iteratorINS9_10device_ptrIiEEEESK_iNS9_4plusIvEENS9_8equal_toIvEEiEE10hipError_tPvRmT2_T3_T4_T5_mT6_T7_P12ihipStream_tbENKUlT_T0_E_clISt17integral_constantIbLb1EES14_IbLb0EEEEDaS10_S11_EUlS10_E_NS1_11comp_targetILNS1_3genE0ELNS1_11target_archE4294967295ELNS1_3gpuE0ELNS1_3repE0EEENS1_30default_config_static_selectorELNS0_4arch9wavefront6targetE1EEEvT1_.has_recursion, 0
	.set _ZN7rocprim17ROCPRIM_400000_NS6detail17trampoline_kernelINS0_14default_configENS1_27scan_by_key_config_selectorImiEEZZNS1_16scan_by_key_implILNS1_25lookback_scan_determinismE0ELb0ES3_N6thrust23THRUST_200600_302600_NS18transform_iteratorI9row_indexNS9_17counting_iteratorImNS9_11use_defaultESD_SD_EESD_SD_EENS9_6detail15normal_iteratorINS9_10device_ptrIiEEEESK_iNS9_4plusIvEENS9_8equal_toIvEEiEE10hipError_tPvRmT2_T3_T4_T5_mT6_T7_P12ihipStream_tbENKUlT_T0_E_clISt17integral_constantIbLb1EES14_IbLb0EEEEDaS10_S11_EUlS10_E_NS1_11comp_targetILNS1_3genE0ELNS1_11target_archE4294967295ELNS1_3gpuE0ELNS1_3repE0EEENS1_30default_config_static_selectorELNS0_4arch9wavefront6targetE1EEEvT1_.has_indirect_call, 0
	.section	.AMDGPU.csdata,"",@progbits
; Kernel info:
; codeLenInByte = 0
; TotalNumSgprs: 4
; NumVgprs: 0
; ScratchSize: 0
; MemoryBound: 0
; FloatMode: 240
; IeeeMode: 1
; LDSByteSize: 0 bytes/workgroup (compile time only)
; SGPRBlocks: 0
; VGPRBlocks: 0
; NumSGPRsForWavesPerEU: 4
; NumVGPRsForWavesPerEU: 1
; Occupancy: 10
; WaveLimiterHint : 0
; COMPUTE_PGM_RSRC2:SCRATCH_EN: 0
; COMPUTE_PGM_RSRC2:USER_SGPR: 6
; COMPUTE_PGM_RSRC2:TRAP_HANDLER: 0
; COMPUTE_PGM_RSRC2:TGID_X_EN: 1
; COMPUTE_PGM_RSRC2:TGID_Y_EN: 0
; COMPUTE_PGM_RSRC2:TGID_Z_EN: 0
; COMPUTE_PGM_RSRC2:TIDIG_COMP_CNT: 0
	.section	.text._ZN7rocprim17ROCPRIM_400000_NS6detail17trampoline_kernelINS0_14default_configENS1_27scan_by_key_config_selectorImiEEZZNS1_16scan_by_key_implILNS1_25lookback_scan_determinismE0ELb0ES3_N6thrust23THRUST_200600_302600_NS18transform_iteratorI9row_indexNS9_17counting_iteratorImNS9_11use_defaultESD_SD_EESD_SD_EENS9_6detail15normal_iteratorINS9_10device_ptrIiEEEESK_iNS9_4plusIvEENS9_8equal_toIvEEiEE10hipError_tPvRmT2_T3_T4_T5_mT6_T7_P12ihipStream_tbENKUlT_T0_E_clISt17integral_constantIbLb1EES14_IbLb0EEEEDaS10_S11_EUlS10_E_NS1_11comp_targetILNS1_3genE10ELNS1_11target_archE1201ELNS1_3gpuE5ELNS1_3repE0EEENS1_30default_config_static_selectorELNS0_4arch9wavefront6targetE1EEEvT1_,"axG",@progbits,_ZN7rocprim17ROCPRIM_400000_NS6detail17trampoline_kernelINS0_14default_configENS1_27scan_by_key_config_selectorImiEEZZNS1_16scan_by_key_implILNS1_25lookback_scan_determinismE0ELb0ES3_N6thrust23THRUST_200600_302600_NS18transform_iteratorI9row_indexNS9_17counting_iteratorImNS9_11use_defaultESD_SD_EESD_SD_EENS9_6detail15normal_iteratorINS9_10device_ptrIiEEEESK_iNS9_4plusIvEENS9_8equal_toIvEEiEE10hipError_tPvRmT2_T3_T4_T5_mT6_T7_P12ihipStream_tbENKUlT_T0_E_clISt17integral_constantIbLb1EES14_IbLb0EEEEDaS10_S11_EUlS10_E_NS1_11comp_targetILNS1_3genE10ELNS1_11target_archE1201ELNS1_3gpuE5ELNS1_3repE0EEENS1_30default_config_static_selectorELNS0_4arch9wavefront6targetE1EEEvT1_,comdat
	.protected	_ZN7rocprim17ROCPRIM_400000_NS6detail17trampoline_kernelINS0_14default_configENS1_27scan_by_key_config_selectorImiEEZZNS1_16scan_by_key_implILNS1_25lookback_scan_determinismE0ELb0ES3_N6thrust23THRUST_200600_302600_NS18transform_iteratorI9row_indexNS9_17counting_iteratorImNS9_11use_defaultESD_SD_EESD_SD_EENS9_6detail15normal_iteratorINS9_10device_ptrIiEEEESK_iNS9_4plusIvEENS9_8equal_toIvEEiEE10hipError_tPvRmT2_T3_T4_T5_mT6_T7_P12ihipStream_tbENKUlT_T0_E_clISt17integral_constantIbLb1EES14_IbLb0EEEEDaS10_S11_EUlS10_E_NS1_11comp_targetILNS1_3genE10ELNS1_11target_archE1201ELNS1_3gpuE5ELNS1_3repE0EEENS1_30default_config_static_selectorELNS0_4arch9wavefront6targetE1EEEvT1_ ; -- Begin function _ZN7rocprim17ROCPRIM_400000_NS6detail17trampoline_kernelINS0_14default_configENS1_27scan_by_key_config_selectorImiEEZZNS1_16scan_by_key_implILNS1_25lookback_scan_determinismE0ELb0ES3_N6thrust23THRUST_200600_302600_NS18transform_iteratorI9row_indexNS9_17counting_iteratorImNS9_11use_defaultESD_SD_EESD_SD_EENS9_6detail15normal_iteratorINS9_10device_ptrIiEEEESK_iNS9_4plusIvEENS9_8equal_toIvEEiEE10hipError_tPvRmT2_T3_T4_T5_mT6_T7_P12ihipStream_tbENKUlT_T0_E_clISt17integral_constantIbLb1EES14_IbLb0EEEEDaS10_S11_EUlS10_E_NS1_11comp_targetILNS1_3genE10ELNS1_11target_archE1201ELNS1_3gpuE5ELNS1_3repE0EEENS1_30default_config_static_selectorELNS0_4arch9wavefront6targetE1EEEvT1_
	.globl	_ZN7rocprim17ROCPRIM_400000_NS6detail17trampoline_kernelINS0_14default_configENS1_27scan_by_key_config_selectorImiEEZZNS1_16scan_by_key_implILNS1_25lookback_scan_determinismE0ELb0ES3_N6thrust23THRUST_200600_302600_NS18transform_iteratorI9row_indexNS9_17counting_iteratorImNS9_11use_defaultESD_SD_EESD_SD_EENS9_6detail15normal_iteratorINS9_10device_ptrIiEEEESK_iNS9_4plusIvEENS9_8equal_toIvEEiEE10hipError_tPvRmT2_T3_T4_T5_mT6_T7_P12ihipStream_tbENKUlT_T0_E_clISt17integral_constantIbLb1EES14_IbLb0EEEEDaS10_S11_EUlS10_E_NS1_11comp_targetILNS1_3genE10ELNS1_11target_archE1201ELNS1_3gpuE5ELNS1_3repE0EEENS1_30default_config_static_selectorELNS0_4arch9wavefront6targetE1EEEvT1_
	.p2align	8
	.type	_ZN7rocprim17ROCPRIM_400000_NS6detail17trampoline_kernelINS0_14default_configENS1_27scan_by_key_config_selectorImiEEZZNS1_16scan_by_key_implILNS1_25lookback_scan_determinismE0ELb0ES3_N6thrust23THRUST_200600_302600_NS18transform_iteratorI9row_indexNS9_17counting_iteratorImNS9_11use_defaultESD_SD_EESD_SD_EENS9_6detail15normal_iteratorINS9_10device_ptrIiEEEESK_iNS9_4plusIvEENS9_8equal_toIvEEiEE10hipError_tPvRmT2_T3_T4_T5_mT6_T7_P12ihipStream_tbENKUlT_T0_E_clISt17integral_constantIbLb1EES14_IbLb0EEEEDaS10_S11_EUlS10_E_NS1_11comp_targetILNS1_3genE10ELNS1_11target_archE1201ELNS1_3gpuE5ELNS1_3repE0EEENS1_30default_config_static_selectorELNS0_4arch9wavefront6targetE1EEEvT1_,@function
_ZN7rocprim17ROCPRIM_400000_NS6detail17trampoline_kernelINS0_14default_configENS1_27scan_by_key_config_selectorImiEEZZNS1_16scan_by_key_implILNS1_25lookback_scan_determinismE0ELb0ES3_N6thrust23THRUST_200600_302600_NS18transform_iteratorI9row_indexNS9_17counting_iteratorImNS9_11use_defaultESD_SD_EESD_SD_EENS9_6detail15normal_iteratorINS9_10device_ptrIiEEEESK_iNS9_4plusIvEENS9_8equal_toIvEEiEE10hipError_tPvRmT2_T3_T4_T5_mT6_T7_P12ihipStream_tbENKUlT_T0_E_clISt17integral_constantIbLb1EES14_IbLb0EEEEDaS10_S11_EUlS10_E_NS1_11comp_targetILNS1_3genE10ELNS1_11target_archE1201ELNS1_3gpuE5ELNS1_3repE0EEENS1_30default_config_static_selectorELNS0_4arch9wavefront6targetE1EEEvT1_: ; @_ZN7rocprim17ROCPRIM_400000_NS6detail17trampoline_kernelINS0_14default_configENS1_27scan_by_key_config_selectorImiEEZZNS1_16scan_by_key_implILNS1_25lookback_scan_determinismE0ELb0ES3_N6thrust23THRUST_200600_302600_NS18transform_iteratorI9row_indexNS9_17counting_iteratorImNS9_11use_defaultESD_SD_EESD_SD_EENS9_6detail15normal_iteratorINS9_10device_ptrIiEEEESK_iNS9_4plusIvEENS9_8equal_toIvEEiEE10hipError_tPvRmT2_T3_T4_T5_mT6_T7_P12ihipStream_tbENKUlT_T0_E_clISt17integral_constantIbLb1EES14_IbLb0EEEEDaS10_S11_EUlS10_E_NS1_11comp_targetILNS1_3genE10ELNS1_11target_archE1201ELNS1_3gpuE5ELNS1_3repE0EEENS1_30default_config_static_selectorELNS0_4arch9wavefront6targetE1EEEvT1_
; %bb.0:
	.section	.rodata,"a",@progbits
	.p2align	6, 0x0
	.amdhsa_kernel _ZN7rocprim17ROCPRIM_400000_NS6detail17trampoline_kernelINS0_14default_configENS1_27scan_by_key_config_selectorImiEEZZNS1_16scan_by_key_implILNS1_25lookback_scan_determinismE0ELb0ES3_N6thrust23THRUST_200600_302600_NS18transform_iteratorI9row_indexNS9_17counting_iteratorImNS9_11use_defaultESD_SD_EESD_SD_EENS9_6detail15normal_iteratorINS9_10device_ptrIiEEEESK_iNS9_4plusIvEENS9_8equal_toIvEEiEE10hipError_tPvRmT2_T3_T4_T5_mT6_T7_P12ihipStream_tbENKUlT_T0_E_clISt17integral_constantIbLb1EES14_IbLb0EEEEDaS10_S11_EUlS10_E_NS1_11comp_targetILNS1_3genE10ELNS1_11target_archE1201ELNS1_3gpuE5ELNS1_3repE0EEENS1_30default_config_static_selectorELNS0_4arch9wavefront6targetE1EEEvT1_
		.amdhsa_group_segment_fixed_size 0
		.amdhsa_private_segment_fixed_size 0
		.amdhsa_kernarg_size 120
		.amdhsa_user_sgpr_count 6
		.amdhsa_user_sgpr_private_segment_buffer 1
		.amdhsa_user_sgpr_dispatch_ptr 0
		.amdhsa_user_sgpr_queue_ptr 0
		.amdhsa_user_sgpr_kernarg_segment_ptr 1
		.amdhsa_user_sgpr_dispatch_id 0
		.amdhsa_user_sgpr_flat_scratch_init 0
		.amdhsa_user_sgpr_private_segment_size 0
		.amdhsa_uses_dynamic_stack 0
		.amdhsa_system_sgpr_private_segment_wavefront_offset 0
		.amdhsa_system_sgpr_workgroup_id_x 1
		.amdhsa_system_sgpr_workgroup_id_y 0
		.amdhsa_system_sgpr_workgroup_id_z 0
		.amdhsa_system_sgpr_workgroup_info 0
		.amdhsa_system_vgpr_workitem_id 0
		.amdhsa_next_free_vgpr 1
		.amdhsa_next_free_sgpr 0
		.amdhsa_reserve_vcc 0
		.amdhsa_reserve_flat_scratch 0
		.amdhsa_float_round_mode_32 0
		.amdhsa_float_round_mode_16_64 0
		.amdhsa_float_denorm_mode_32 3
		.amdhsa_float_denorm_mode_16_64 3
		.amdhsa_dx10_clamp 1
		.amdhsa_ieee_mode 1
		.amdhsa_fp16_overflow 0
		.amdhsa_exception_fp_ieee_invalid_op 0
		.amdhsa_exception_fp_denorm_src 0
		.amdhsa_exception_fp_ieee_div_zero 0
		.amdhsa_exception_fp_ieee_overflow 0
		.amdhsa_exception_fp_ieee_underflow 0
		.amdhsa_exception_fp_ieee_inexact 0
		.amdhsa_exception_int_div_zero 0
	.end_amdhsa_kernel
	.section	.text._ZN7rocprim17ROCPRIM_400000_NS6detail17trampoline_kernelINS0_14default_configENS1_27scan_by_key_config_selectorImiEEZZNS1_16scan_by_key_implILNS1_25lookback_scan_determinismE0ELb0ES3_N6thrust23THRUST_200600_302600_NS18transform_iteratorI9row_indexNS9_17counting_iteratorImNS9_11use_defaultESD_SD_EESD_SD_EENS9_6detail15normal_iteratorINS9_10device_ptrIiEEEESK_iNS9_4plusIvEENS9_8equal_toIvEEiEE10hipError_tPvRmT2_T3_T4_T5_mT6_T7_P12ihipStream_tbENKUlT_T0_E_clISt17integral_constantIbLb1EES14_IbLb0EEEEDaS10_S11_EUlS10_E_NS1_11comp_targetILNS1_3genE10ELNS1_11target_archE1201ELNS1_3gpuE5ELNS1_3repE0EEENS1_30default_config_static_selectorELNS0_4arch9wavefront6targetE1EEEvT1_,"axG",@progbits,_ZN7rocprim17ROCPRIM_400000_NS6detail17trampoline_kernelINS0_14default_configENS1_27scan_by_key_config_selectorImiEEZZNS1_16scan_by_key_implILNS1_25lookback_scan_determinismE0ELb0ES3_N6thrust23THRUST_200600_302600_NS18transform_iteratorI9row_indexNS9_17counting_iteratorImNS9_11use_defaultESD_SD_EESD_SD_EENS9_6detail15normal_iteratorINS9_10device_ptrIiEEEESK_iNS9_4plusIvEENS9_8equal_toIvEEiEE10hipError_tPvRmT2_T3_T4_T5_mT6_T7_P12ihipStream_tbENKUlT_T0_E_clISt17integral_constantIbLb1EES14_IbLb0EEEEDaS10_S11_EUlS10_E_NS1_11comp_targetILNS1_3genE10ELNS1_11target_archE1201ELNS1_3gpuE5ELNS1_3repE0EEENS1_30default_config_static_selectorELNS0_4arch9wavefront6targetE1EEEvT1_,comdat
.Lfunc_end26:
	.size	_ZN7rocprim17ROCPRIM_400000_NS6detail17trampoline_kernelINS0_14default_configENS1_27scan_by_key_config_selectorImiEEZZNS1_16scan_by_key_implILNS1_25lookback_scan_determinismE0ELb0ES3_N6thrust23THRUST_200600_302600_NS18transform_iteratorI9row_indexNS9_17counting_iteratorImNS9_11use_defaultESD_SD_EESD_SD_EENS9_6detail15normal_iteratorINS9_10device_ptrIiEEEESK_iNS9_4plusIvEENS9_8equal_toIvEEiEE10hipError_tPvRmT2_T3_T4_T5_mT6_T7_P12ihipStream_tbENKUlT_T0_E_clISt17integral_constantIbLb1EES14_IbLb0EEEEDaS10_S11_EUlS10_E_NS1_11comp_targetILNS1_3genE10ELNS1_11target_archE1201ELNS1_3gpuE5ELNS1_3repE0EEENS1_30default_config_static_selectorELNS0_4arch9wavefront6targetE1EEEvT1_, .Lfunc_end26-_ZN7rocprim17ROCPRIM_400000_NS6detail17trampoline_kernelINS0_14default_configENS1_27scan_by_key_config_selectorImiEEZZNS1_16scan_by_key_implILNS1_25lookback_scan_determinismE0ELb0ES3_N6thrust23THRUST_200600_302600_NS18transform_iteratorI9row_indexNS9_17counting_iteratorImNS9_11use_defaultESD_SD_EESD_SD_EENS9_6detail15normal_iteratorINS9_10device_ptrIiEEEESK_iNS9_4plusIvEENS9_8equal_toIvEEiEE10hipError_tPvRmT2_T3_T4_T5_mT6_T7_P12ihipStream_tbENKUlT_T0_E_clISt17integral_constantIbLb1EES14_IbLb0EEEEDaS10_S11_EUlS10_E_NS1_11comp_targetILNS1_3genE10ELNS1_11target_archE1201ELNS1_3gpuE5ELNS1_3repE0EEENS1_30default_config_static_selectorELNS0_4arch9wavefront6targetE1EEEvT1_
                                        ; -- End function
	.set _ZN7rocprim17ROCPRIM_400000_NS6detail17trampoline_kernelINS0_14default_configENS1_27scan_by_key_config_selectorImiEEZZNS1_16scan_by_key_implILNS1_25lookback_scan_determinismE0ELb0ES3_N6thrust23THRUST_200600_302600_NS18transform_iteratorI9row_indexNS9_17counting_iteratorImNS9_11use_defaultESD_SD_EESD_SD_EENS9_6detail15normal_iteratorINS9_10device_ptrIiEEEESK_iNS9_4plusIvEENS9_8equal_toIvEEiEE10hipError_tPvRmT2_T3_T4_T5_mT6_T7_P12ihipStream_tbENKUlT_T0_E_clISt17integral_constantIbLb1EES14_IbLb0EEEEDaS10_S11_EUlS10_E_NS1_11comp_targetILNS1_3genE10ELNS1_11target_archE1201ELNS1_3gpuE5ELNS1_3repE0EEENS1_30default_config_static_selectorELNS0_4arch9wavefront6targetE1EEEvT1_.num_vgpr, 0
	.set _ZN7rocprim17ROCPRIM_400000_NS6detail17trampoline_kernelINS0_14default_configENS1_27scan_by_key_config_selectorImiEEZZNS1_16scan_by_key_implILNS1_25lookback_scan_determinismE0ELb0ES3_N6thrust23THRUST_200600_302600_NS18transform_iteratorI9row_indexNS9_17counting_iteratorImNS9_11use_defaultESD_SD_EESD_SD_EENS9_6detail15normal_iteratorINS9_10device_ptrIiEEEESK_iNS9_4plusIvEENS9_8equal_toIvEEiEE10hipError_tPvRmT2_T3_T4_T5_mT6_T7_P12ihipStream_tbENKUlT_T0_E_clISt17integral_constantIbLb1EES14_IbLb0EEEEDaS10_S11_EUlS10_E_NS1_11comp_targetILNS1_3genE10ELNS1_11target_archE1201ELNS1_3gpuE5ELNS1_3repE0EEENS1_30default_config_static_selectorELNS0_4arch9wavefront6targetE1EEEvT1_.num_agpr, 0
	.set _ZN7rocprim17ROCPRIM_400000_NS6detail17trampoline_kernelINS0_14default_configENS1_27scan_by_key_config_selectorImiEEZZNS1_16scan_by_key_implILNS1_25lookback_scan_determinismE0ELb0ES3_N6thrust23THRUST_200600_302600_NS18transform_iteratorI9row_indexNS9_17counting_iteratorImNS9_11use_defaultESD_SD_EESD_SD_EENS9_6detail15normal_iteratorINS9_10device_ptrIiEEEESK_iNS9_4plusIvEENS9_8equal_toIvEEiEE10hipError_tPvRmT2_T3_T4_T5_mT6_T7_P12ihipStream_tbENKUlT_T0_E_clISt17integral_constantIbLb1EES14_IbLb0EEEEDaS10_S11_EUlS10_E_NS1_11comp_targetILNS1_3genE10ELNS1_11target_archE1201ELNS1_3gpuE5ELNS1_3repE0EEENS1_30default_config_static_selectorELNS0_4arch9wavefront6targetE1EEEvT1_.numbered_sgpr, 0
	.set _ZN7rocprim17ROCPRIM_400000_NS6detail17trampoline_kernelINS0_14default_configENS1_27scan_by_key_config_selectorImiEEZZNS1_16scan_by_key_implILNS1_25lookback_scan_determinismE0ELb0ES3_N6thrust23THRUST_200600_302600_NS18transform_iteratorI9row_indexNS9_17counting_iteratorImNS9_11use_defaultESD_SD_EESD_SD_EENS9_6detail15normal_iteratorINS9_10device_ptrIiEEEESK_iNS9_4plusIvEENS9_8equal_toIvEEiEE10hipError_tPvRmT2_T3_T4_T5_mT6_T7_P12ihipStream_tbENKUlT_T0_E_clISt17integral_constantIbLb1EES14_IbLb0EEEEDaS10_S11_EUlS10_E_NS1_11comp_targetILNS1_3genE10ELNS1_11target_archE1201ELNS1_3gpuE5ELNS1_3repE0EEENS1_30default_config_static_selectorELNS0_4arch9wavefront6targetE1EEEvT1_.num_named_barrier, 0
	.set _ZN7rocprim17ROCPRIM_400000_NS6detail17trampoline_kernelINS0_14default_configENS1_27scan_by_key_config_selectorImiEEZZNS1_16scan_by_key_implILNS1_25lookback_scan_determinismE0ELb0ES3_N6thrust23THRUST_200600_302600_NS18transform_iteratorI9row_indexNS9_17counting_iteratorImNS9_11use_defaultESD_SD_EESD_SD_EENS9_6detail15normal_iteratorINS9_10device_ptrIiEEEESK_iNS9_4plusIvEENS9_8equal_toIvEEiEE10hipError_tPvRmT2_T3_T4_T5_mT6_T7_P12ihipStream_tbENKUlT_T0_E_clISt17integral_constantIbLb1EES14_IbLb0EEEEDaS10_S11_EUlS10_E_NS1_11comp_targetILNS1_3genE10ELNS1_11target_archE1201ELNS1_3gpuE5ELNS1_3repE0EEENS1_30default_config_static_selectorELNS0_4arch9wavefront6targetE1EEEvT1_.private_seg_size, 0
	.set _ZN7rocprim17ROCPRIM_400000_NS6detail17trampoline_kernelINS0_14default_configENS1_27scan_by_key_config_selectorImiEEZZNS1_16scan_by_key_implILNS1_25lookback_scan_determinismE0ELb0ES3_N6thrust23THRUST_200600_302600_NS18transform_iteratorI9row_indexNS9_17counting_iteratorImNS9_11use_defaultESD_SD_EESD_SD_EENS9_6detail15normal_iteratorINS9_10device_ptrIiEEEESK_iNS9_4plusIvEENS9_8equal_toIvEEiEE10hipError_tPvRmT2_T3_T4_T5_mT6_T7_P12ihipStream_tbENKUlT_T0_E_clISt17integral_constantIbLb1EES14_IbLb0EEEEDaS10_S11_EUlS10_E_NS1_11comp_targetILNS1_3genE10ELNS1_11target_archE1201ELNS1_3gpuE5ELNS1_3repE0EEENS1_30default_config_static_selectorELNS0_4arch9wavefront6targetE1EEEvT1_.uses_vcc, 0
	.set _ZN7rocprim17ROCPRIM_400000_NS6detail17trampoline_kernelINS0_14default_configENS1_27scan_by_key_config_selectorImiEEZZNS1_16scan_by_key_implILNS1_25lookback_scan_determinismE0ELb0ES3_N6thrust23THRUST_200600_302600_NS18transform_iteratorI9row_indexNS9_17counting_iteratorImNS9_11use_defaultESD_SD_EESD_SD_EENS9_6detail15normal_iteratorINS9_10device_ptrIiEEEESK_iNS9_4plusIvEENS9_8equal_toIvEEiEE10hipError_tPvRmT2_T3_T4_T5_mT6_T7_P12ihipStream_tbENKUlT_T0_E_clISt17integral_constantIbLb1EES14_IbLb0EEEEDaS10_S11_EUlS10_E_NS1_11comp_targetILNS1_3genE10ELNS1_11target_archE1201ELNS1_3gpuE5ELNS1_3repE0EEENS1_30default_config_static_selectorELNS0_4arch9wavefront6targetE1EEEvT1_.uses_flat_scratch, 0
	.set _ZN7rocprim17ROCPRIM_400000_NS6detail17trampoline_kernelINS0_14default_configENS1_27scan_by_key_config_selectorImiEEZZNS1_16scan_by_key_implILNS1_25lookback_scan_determinismE0ELb0ES3_N6thrust23THRUST_200600_302600_NS18transform_iteratorI9row_indexNS9_17counting_iteratorImNS9_11use_defaultESD_SD_EESD_SD_EENS9_6detail15normal_iteratorINS9_10device_ptrIiEEEESK_iNS9_4plusIvEENS9_8equal_toIvEEiEE10hipError_tPvRmT2_T3_T4_T5_mT6_T7_P12ihipStream_tbENKUlT_T0_E_clISt17integral_constantIbLb1EES14_IbLb0EEEEDaS10_S11_EUlS10_E_NS1_11comp_targetILNS1_3genE10ELNS1_11target_archE1201ELNS1_3gpuE5ELNS1_3repE0EEENS1_30default_config_static_selectorELNS0_4arch9wavefront6targetE1EEEvT1_.has_dyn_sized_stack, 0
	.set _ZN7rocprim17ROCPRIM_400000_NS6detail17trampoline_kernelINS0_14default_configENS1_27scan_by_key_config_selectorImiEEZZNS1_16scan_by_key_implILNS1_25lookback_scan_determinismE0ELb0ES3_N6thrust23THRUST_200600_302600_NS18transform_iteratorI9row_indexNS9_17counting_iteratorImNS9_11use_defaultESD_SD_EESD_SD_EENS9_6detail15normal_iteratorINS9_10device_ptrIiEEEESK_iNS9_4plusIvEENS9_8equal_toIvEEiEE10hipError_tPvRmT2_T3_T4_T5_mT6_T7_P12ihipStream_tbENKUlT_T0_E_clISt17integral_constantIbLb1EES14_IbLb0EEEEDaS10_S11_EUlS10_E_NS1_11comp_targetILNS1_3genE10ELNS1_11target_archE1201ELNS1_3gpuE5ELNS1_3repE0EEENS1_30default_config_static_selectorELNS0_4arch9wavefront6targetE1EEEvT1_.has_recursion, 0
	.set _ZN7rocprim17ROCPRIM_400000_NS6detail17trampoline_kernelINS0_14default_configENS1_27scan_by_key_config_selectorImiEEZZNS1_16scan_by_key_implILNS1_25lookback_scan_determinismE0ELb0ES3_N6thrust23THRUST_200600_302600_NS18transform_iteratorI9row_indexNS9_17counting_iteratorImNS9_11use_defaultESD_SD_EESD_SD_EENS9_6detail15normal_iteratorINS9_10device_ptrIiEEEESK_iNS9_4plusIvEENS9_8equal_toIvEEiEE10hipError_tPvRmT2_T3_T4_T5_mT6_T7_P12ihipStream_tbENKUlT_T0_E_clISt17integral_constantIbLb1EES14_IbLb0EEEEDaS10_S11_EUlS10_E_NS1_11comp_targetILNS1_3genE10ELNS1_11target_archE1201ELNS1_3gpuE5ELNS1_3repE0EEENS1_30default_config_static_selectorELNS0_4arch9wavefront6targetE1EEEvT1_.has_indirect_call, 0
	.section	.AMDGPU.csdata,"",@progbits
; Kernel info:
; codeLenInByte = 0
; TotalNumSgprs: 4
; NumVgprs: 0
; ScratchSize: 0
; MemoryBound: 0
; FloatMode: 240
; IeeeMode: 1
; LDSByteSize: 0 bytes/workgroup (compile time only)
; SGPRBlocks: 0
; VGPRBlocks: 0
; NumSGPRsForWavesPerEU: 4
; NumVGPRsForWavesPerEU: 1
; Occupancy: 10
; WaveLimiterHint : 0
; COMPUTE_PGM_RSRC2:SCRATCH_EN: 0
; COMPUTE_PGM_RSRC2:USER_SGPR: 6
; COMPUTE_PGM_RSRC2:TRAP_HANDLER: 0
; COMPUTE_PGM_RSRC2:TGID_X_EN: 1
; COMPUTE_PGM_RSRC2:TGID_Y_EN: 0
; COMPUTE_PGM_RSRC2:TGID_Z_EN: 0
; COMPUTE_PGM_RSRC2:TIDIG_COMP_CNT: 0
	.section	.text._ZN7rocprim17ROCPRIM_400000_NS6detail17trampoline_kernelINS0_14default_configENS1_27scan_by_key_config_selectorImiEEZZNS1_16scan_by_key_implILNS1_25lookback_scan_determinismE0ELb0ES3_N6thrust23THRUST_200600_302600_NS18transform_iteratorI9row_indexNS9_17counting_iteratorImNS9_11use_defaultESD_SD_EESD_SD_EENS9_6detail15normal_iteratorINS9_10device_ptrIiEEEESK_iNS9_4plusIvEENS9_8equal_toIvEEiEE10hipError_tPvRmT2_T3_T4_T5_mT6_T7_P12ihipStream_tbENKUlT_T0_E_clISt17integral_constantIbLb1EES14_IbLb0EEEEDaS10_S11_EUlS10_E_NS1_11comp_targetILNS1_3genE5ELNS1_11target_archE942ELNS1_3gpuE9ELNS1_3repE0EEENS1_30default_config_static_selectorELNS0_4arch9wavefront6targetE1EEEvT1_,"axG",@progbits,_ZN7rocprim17ROCPRIM_400000_NS6detail17trampoline_kernelINS0_14default_configENS1_27scan_by_key_config_selectorImiEEZZNS1_16scan_by_key_implILNS1_25lookback_scan_determinismE0ELb0ES3_N6thrust23THRUST_200600_302600_NS18transform_iteratorI9row_indexNS9_17counting_iteratorImNS9_11use_defaultESD_SD_EESD_SD_EENS9_6detail15normal_iteratorINS9_10device_ptrIiEEEESK_iNS9_4plusIvEENS9_8equal_toIvEEiEE10hipError_tPvRmT2_T3_T4_T5_mT6_T7_P12ihipStream_tbENKUlT_T0_E_clISt17integral_constantIbLb1EES14_IbLb0EEEEDaS10_S11_EUlS10_E_NS1_11comp_targetILNS1_3genE5ELNS1_11target_archE942ELNS1_3gpuE9ELNS1_3repE0EEENS1_30default_config_static_selectorELNS0_4arch9wavefront6targetE1EEEvT1_,comdat
	.protected	_ZN7rocprim17ROCPRIM_400000_NS6detail17trampoline_kernelINS0_14default_configENS1_27scan_by_key_config_selectorImiEEZZNS1_16scan_by_key_implILNS1_25lookback_scan_determinismE0ELb0ES3_N6thrust23THRUST_200600_302600_NS18transform_iteratorI9row_indexNS9_17counting_iteratorImNS9_11use_defaultESD_SD_EESD_SD_EENS9_6detail15normal_iteratorINS9_10device_ptrIiEEEESK_iNS9_4plusIvEENS9_8equal_toIvEEiEE10hipError_tPvRmT2_T3_T4_T5_mT6_T7_P12ihipStream_tbENKUlT_T0_E_clISt17integral_constantIbLb1EES14_IbLb0EEEEDaS10_S11_EUlS10_E_NS1_11comp_targetILNS1_3genE5ELNS1_11target_archE942ELNS1_3gpuE9ELNS1_3repE0EEENS1_30default_config_static_selectorELNS0_4arch9wavefront6targetE1EEEvT1_ ; -- Begin function _ZN7rocprim17ROCPRIM_400000_NS6detail17trampoline_kernelINS0_14default_configENS1_27scan_by_key_config_selectorImiEEZZNS1_16scan_by_key_implILNS1_25lookback_scan_determinismE0ELb0ES3_N6thrust23THRUST_200600_302600_NS18transform_iteratorI9row_indexNS9_17counting_iteratorImNS9_11use_defaultESD_SD_EESD_SD_EENS9_6detail15normal_iteratorINS9_10device_ptrIiEEEESK_iNS9_4plusIvEENS9_8equal_toIvEEiEE10hipError_tPvRmT2_T3_T4_T5_mT6_T7_P12ihipStream_tbENKUlT_T0_E_clISt17integral_constantIbLb1EES14_IbLb0EEEEDaS10_S11_EUlS10_E_NS1_11comp_targetILNS1_3genE5ELNS1_11target_archE942ELNS1_3gpuE9ELNS1_3repE0EEENS1_30default_config_static_selectorELNS0_4arch9wavefront6targetE1EEEvT1_
	.globl	_ZN7rocprim17ROCPRIM_400000_NS6detail17trampoline_kernelINS0_14default_configENS1_27scan_by_key_config_selectorImiEEZZNS1_16scan_by_key_implILNS1_25lookback_scan_determinismE0ELb0ES3_N6thrust23THRUST_200600_302600_NS18transform_iteratorI9row_indexNS9_17counting_iteratorImNS9_11use_defaultESD_SD_EESD_SD_EENS9_6detail15normal_iteratorINS9_10device_ptrIiEEEESK_iNS9_4plusIvEENS9_8equal_toIvEEiEE10hipError_tPvRmT2_T3_T4_T5_mT6_T7_P12ihipStream_tbENKUlT_T0_E_clISt17integral_constantIbLb1EES14_IbLb0EEEEDaS10_S11_EUlS10_E_NS1_11comp_targetILNS1_3genE5ELNS1_11target_archE942ELNS1_3gpuE9ELNS1_3repE0EEENS1_30default_config_static_selectorELNS0_4arch9wavefront6targetE1EEEvT1_
	.p2align	8
	.type	_ZN7rocprim17ROCPRIM_400000_NS6detail17trampoline_kernelINS0_14default_configENS1_27scan_by_key_config_selectorImiEEZZNS1_16scan_by_key_implILNS1_25lookback_scan_determinismE0ELb0ES3_N6thrust23THRUST_200600_302600_NS18transform_iteratorI9row_indexNS9_17counting_iteratorImNS9_11use_defaultESD_SD_EESD_SD_EENS9_6detail15normal_iteratorINS9_10device_ptrIiEEEESK_iNS9_4plusIvEENS9_8equal_toIvEEiEE10hipError_tPvRmT2_T3_T4_T5_mT6_T7_P12ihipStream_tbENKUlT_T0_E_clISt17integral_constantIbLb1EES14_IbLb0EEEEDaS10_S11_EUlS10_E_NS1_11comp_targetILNS1_3genE5ELNS1_11target_archE942ELNS1_3gpuE9ELNS1_3repE0EEENS1_30default_config_static_selectorELNS0_4arch9wavefront6targetE1EEEvT1_,@function
_ZN7rocprim17ROCPRIM_400000_NS6detail17trampoline_kernelINS0_14default_configENS1_27scan_by_key_config_selectorImiEEZZNS1_16scan_by_key_implILNS1_25lookback_scan_determinismE0ELb0ES3_N6thrust23THRUST_200600_302600_NS18transform_iteratorI9row_indexNS9_17counting_iteratorImNS9_11use_defaultESD_SD_EESD_SD_EENS9_6detail15normal_iteratorINS9_10device_ptrIiEEEESK_iNS9_4plusIvEENS9_8equal_toIvEEiEE10hipError_tPvRmT2_T3_T4_T5_mT6_T7_P12ihipStream_tbENKUlT_T0_E_clISt17integral_constantIbLb1EES14_IbLb0EEEEDaS10_S11_EUlS10_E_NS1_11comp_targetILNS1_3genE5ELNS1_11target_archE942ELNS1_3gpuE9ELNS1_3repE0EEENS1_30default_config_static_selectorELNS0_4arch9wavefront6targetE1EEEvT1_: ; @_ZN7rocprim17ROCPRIM_400000_NS6detail17trampoline_kernelINS0_14default_configENS1_27scan_by_key_config_selectorImiEEZZNS1_16scan_by_key_implILNS1_25lookback_scan_determinismE0ELb0ES3_N6thrust23THRUST_200600_302600_NS18transform_iteratorI9row_indexNS9_17counting_iteratorImNS9_11use_defaultESD_SD_EESD_SD_EENS9_6detail15normal_iteratorINS9_10device_ptrIiEEEESK_iNS9_4plusIvEENS9_8equal_toIvEEiEE10hipError_tPvRmT2_T3_T4_T5_mT6_T7_P12ihipStream_tbENKUlT_T0_E_clISt17integral_constantIbLb1EES14_IbLb0EEEEDaS10_S11_EUlS10_E_NS1_11comp_targetILNS1_3genE5ELNS1_11target_archE942ELNS1_3gpuE9ELNS1_3repE0EEENS1_30default_config_static_selectorELNS0_4arch9wavefront6targetE1EEEvT1_
; %bb.0:
	.section	.rodata,"a",@progbits
	.p2align	6, 0x0
	.amdhsa_kernel _ZN7rocprim17ROCPRIM_400000_NS6detail17trampoline_kernelINS0_14default_configENS1_27scan_by_key_config_selectorImiEEZZNS1_16scan_by_key_implILNS1_25lookback_scan_determinismE0ELb0ES3_N6thrust23THRUST_200600_302600_NS18transform_iteratorI9row_indexNS9_17counting_iteratorImNS9_11use_defaultESD_SD_EESD_SD_EENS9_6detail15normal_iteratorINS9_10device_ptrIiEEEESK_iNS9_4plusIvEENS9_8equal_toIvEEiEE10hipError_tPvRmT2_T3_T4_T5_mT6_T7_P12ihipStream_tbENKUlT_T0_E_clISt17integral_constantIbLb1EES14_IbLb0EEEEDaS10_S11_EUlS10_E_NS1_11comp_targetILNS1_3genE5ELNS1_11target_archE942ELNS1_3gpuE9ELNS1_3repE0EEENS1_30default_config_static_selectorELNS0_4arch9wavefront6targetE1EEEvT1_
		.amdhsa_group_segment_fixed_size 0
		.amdhsa_private_segment_fixed_size 0
		.amdhsa_kernarg_size 120
		.amdhsa_user_sgpr_count 6
		.amdhsa_user_sgpr_private_segment_buffer 1
		.amdhsa_user_sgpr_dispatch_ptr 0
		.amdhsa_user_sgpr_queue_ptr 0
		.amdhsa_user_sgpr_kernarg_segment_ptr 1
		.amdhsa_user_sgpr_dispatch_id 0
		.amdhsa_user_sgpr_flat_scratch_init 0
		.amdhsa_user_sgpr_private_segment_size 0
		.amdhsa_uses_dynamic_stack 0
		.amdhsa_system_sgpr_private_segment_wavefront_offset 0
		.amdhsa_system_sgpr_workgroup_id_x 1
		.amdhsa_system_sgpr_workgroup_id_y 0
		.amdhsa_system_sgpr_workgroup_id_z 0
		.amdhsa_system_sgpr_workgroup_info 0
		.amdhsa_system_vgpr_workitem_id 0
		.amdhsa_next_free_vgpr 1
		.amdhsa_next_free_sgpr 0
		.amdhsa_reserve_vcc 0
		.amdhsa_reserve_flat_scratch 0
		.amdhsa_float_round_mode_32 0
		.amdhsa_float_round_mode_16_64 0
		.amdhsa_float_denorm_mode_32 3
		.amdhsa_float_denorm_mode_16_64 3
		.amdhsa_dx10_clamp 1
		.amdhsa_ieee_mode 1
		.amdhsa_fp16_overflow 0
		.amdhsa_exception_fp_ieee_invalid_op 0
		.amdhsa_exception_fp_denorm_src 0
		.amdhsa_exception_fp_ieee_div_zero 0
		.amdhsa_exception_fp_ieee_overflow 0
		.amdhsa_exception_fp_ieee_underflow 0
		.amdhsa_exception_fp_ieee_inexact 0
		.amdhsa_exception_int_div_zero 0
	.end_amdhsa_kernel
	.section	.text._ZN7rocprim17ROCPRIM_400000_NS6detail17trampoline_kernelINS0_14default_configENS1_27scan_by_key_config_selectorImiEEZZNS1_16scan_by_key_implILNS1_25lookback_scan_determinismE0ELb0ES3_N6thrust23THRUST_200600_302600_NS18transform_iteratorI9row_indexNS9_17counting_iteratorImNS9_11use_defaultESD_SD_EESD_SD_EENS9_6detail15normal_iteratorINS9_10device_ptrIiEEEESK_iNS9_4plusIvEENS9_8equal_toIvEEiEE10hipError_tPvRmT2_T3_T4_T5_mT6_T7_P12ihipStream_tbENKUlT_T0_E_clISt17integral_constantIbLb1EES14_IbLb0EEEEDaS10_S11_EUlS10_E_NS1_11comp_targetILNS1_3genE5ELNS1_11target_archE942ELNS1_3gpuE9ELNS1_3repE0EEENS1_30default_config_static_selectorELNS0_4arch9wavefront6targetE1EEEvT1_,"axG",@progbits,_ZN7rocprim17ROCPRIM_400000_NS6detail17trampoline_kernelINS0_14default_configENS1_27scan_by_key_config_selectorImiEEZZNS1_16scan_by_key_implILNS1_25lookback_scan_determinismE0ELb0ES3_N6thrust23THRUST_200600_302600_NS18transform_iteratorI9row_indexNS9_17counting_iteratorImNS9_11use_defaultESD_SD_EESD_SD_EENS9_6detail15normal_iteratorINS9_10device_ptrIiEEEESK_iNS9_4plusIvEENS9_8equal_toIvEEiEE10hipError_tPvRmT2_T3_T4_T5_mT6_T7_P12ihipStream_tbENKUlT_T0_E_clISt17integral_constantIbLb1EES14_IbLb0EEEEDaS10_S11_EUlS10_E_NS1_11comp_targetILNS1_3genE5ELNS1_11target_archE942ELNS1_3gpuE9ELNS1_3repE0EEENS1_30default_config_static_selectorELNS0_4arch9wavefront6targetE1EEEvT1_,comdat
.Lfunc_end27:
	.size	_ZN7rocprim17ROCPRIM_400000_NS6detail17trampoline_kernelINS0_14default_configENS1_27scan_by_key_config_selectorImiEEZZNS1_16scan_by_key_implILNS1_25lookback_scan_determinismE0ELb0ES3_N6thrust23THRUST_200600_302600_NS18transform_iteratorI9row_indexNS9_17counting_iteratorImNS9_11use_defaultESD_SD_EESD_SD_EENS9_6detail15normal_iteratorINS9_10device_ptrIiEEEESK_iNS9_4plusIvEENS9_8equal_toIvEEiEE10hipError_tPvRmT2_T3_T4_T5_mT6_T7_P12ihipStream_tbENKUlT_T0_E_clISt17integral_constantIbLb1EES14_IbLb0EEEEDaS10_S11_EUlS10_E_NS1_11comp_targetILNS1_3genE5ELNS1_11target_archE942ELNS1_3gpuE9ELNS1_3repE0EEENS1_30default_config_static_selectorELNS0_4arch9wavefront6targetE1EEEvT1_, .Lfunc_end27-_ZN7rocprim17ROCPRIM_400000_NS6detail17trampoline_kernelINS0_14default_configENS1_27scan_by_key_config_selectorImiEEZZNS1_16scan_by_key_implILNS1_25lookback_scan_determinismE0ELb0ES3_N6thrust23THRUST_200600_302600_NS18transform_iteratorI9row_indexNS9_17counting_iteratorImNS9_11use_defaultESD_SD_EESD_SD_EENS9_6detail15normal_iteratorINS9_10device_ptrIiEEEESK_iNS9_4plusIvEENS9_8equal_toIvEEiEE10hipError_tPvRmT2_T3_T4_T5_mT6_T7_P12ihipStream_tbENKUlT_T0_E_clISt17integral_constantIbLb1EES14_IbLb0EEEEDaS10_S11_EUlS10_E_NS1_11comp_targetILNS1_3genE5ELNS1_11target_archE942ELNS1_3gpuE9ELNS1_3repE0EEENS1_30default_config_static_selectorELNS0_4arch9wavefront6targetE1EEEvT1_
                                        ; -- End function
	.set _ZN7rocprim17ROCPRIM_400000_NS6detail17trampoline_kernelINS0_14default_configENS1_27scan_by_key_config_selectorImiEEZZNS1_16scan_by_key_implILNS1_25lookback_scan_determinismE0ELb0ES3_N6thrust23THRUST_200600_302600_NS18transform_iteratorI9row_indexNS9_17counting_iteratorImNS9_11use_defaultESD_SD_EESD_SD_EENS9_6detail15normal_iteratorINS9_10device_ptrIiEEEESK_iNS9_4plusIvEENS9_8equal_toIvEEiEE10hipError_tPvRmT2_T3_T4_T5_mT6_T7_P12ihipStream_tbENKUlT_T0_E_clISt17integral_constantIbLb1EES14_IbLb0EEEEDaS10_S11_EUlS10_E_NS1_11comp_targetILNS1_3genE5ELNS1_11target_archE942ELNS1_3gpuE9ELNS1_3repE0EEENS1_30default_config_static_selectorELNS0_4arch9wavefront6targetE1EEEvT1_.num_vgpr, 0
	.set _ZN7rocprim17ROCPRIM_400000_NS6detail17trampoline_kernelINS0_14default_configENS1_27scan_by_key_config_selectorImiEEZZNS1_16scan_by_key_implILNS1_25lookback_scan_determinismE0ELb0ES3_N6thrust23THRUST_200600_302600_NS18transform_iteratorI9row_indexNS9_17counting_iteratorImNS9_11use_defaultESD_SD_EESD_SD_EENS9_6detail15normal_iteratorINS9_10device_ptrIiEEEESK_iNS9_4plusIvEENS9_8equal_toIvEEiEE10hipError_tPvRmT2_T3_T4_T5_mT6_T7_P12ihipStream_tbENKUlT_T0_E_clISt17integral_constantIbLb1EES14_IbLb0EEEEDaS10_S11_EUlS10_E_NS1_11comp_targetILNS1_3genE5ELNS1_11target_archE942ELNS1_3gpuE9ELNS1_3repE0EEENS1_30default_config_static_selectorELNS0_4arch9wavefront6targetE1EEEvT1_.num_agpr, 0
	.set _ZN7rocprim17ROCPRIM_400000_NS6detail17trampoline_kernelINS0_14default_configENS1_27scan_by_key_config_selectorImiEEZZNS1_16scan_by_key_implILNS1_25lookback_scan_determinismE0ELb0ES3_N6thrust23THRUST_200600_302600_NS18transform_iteratorI9row_indexNS9_17counting_iteratorImNS9_11use_defaultESD_SD_EESD_SD_EENS9_6detail15normal_iteratorINS9_10device_ptrIiEEEESK_iNS9_4plusIvEENS9_8equal_toIvEEiEE10hipError_tPvRmT2_T3_T4_T5_mT6_T7_P12ihipStream_tbENKUlT_T0_E_clISt17integral_constantIbLb1EES14_IbLb0EEEEDaS10_S11_EUlS10_E_NS1_11comp_targetILNS1_3genE5ELNS1_11target_archE942ELNS1_3gpuE9ELNS1_3repE0EEENS1_30default_config_static_selectorELNS0_4arch9wavefront6targetE1EEEvT1_.numbered_sgpr, 0
	.set _ZN7rocprim17ROCPRIM_400000_NS6detail17trampoline_kernelINS0_14default_configENS1_27scan_by_key_config_selectorImiEEZZNS1_16scan_by_key_implILNS1_25lookback_scan_determinismE0ELb0ES3_N6thrust23THRUST_200600_302600_NS18transform_iteratorI9row_indexNS9_17counting_iteratorImNS9_11use_defaultESD_SD_EESD_SD_EENS9_6detail15normal_iteratorINS9_10device_ptrIiEEEESK_iNS9_4plusIvEENS9_8equal_toIvEEiEE10hipError_tPvRmT2_T3_T4_T5_mT6_T7_P12ihipStream_tbENKUlT_T0_E_clISt17integral_constantIbLb1EES14_IbLb0EEEEDaS10_S11_EUlS10_E_NS1_11comp_targetILNS1_3genE5ELNS1_11target_archE942ELNS1_3gpuE9ELNS1_3repE0EEENS1_30default_config_static_selectorELNS0_4arch9wavefront6targetE1EEEvT1_.num_named_barrier, 0
	.set _ZN7rocprim17ROCPRIM_400000_NS6detail17trampoline_kernelINS0_14default_configENS1_27scan_by_key_config_selectorImiEEZZNS1_16scan_by_key_implILNS1_25lookback_scan_determinismE0ELb0ES3_N6thrust23THRUST_200600_302600_NS18transform_iteratorI9row_indexNS9_17counting_iteratorImNS9_11use_defaultESD_SD_EESD_SD_EENS9_6detail15normal_iteratorINS9_10device_ptrIiEEEESK_iNS9_4plusIvEENS9_8equal_toIvEEiEE10hipError_tPvRmT2_T3_T4_T5_mT6_T7_P12ihipStream_tbENKUlT_T0_E_clISt17integral_constantIbLb1EES14_IbLb0EEEEDaS10_S11_EUlS10_E_NS1_11comp_targetILNS1_3genE5ELNS1_11target_archE942ELNS1_3gpuE9ELNS1_3repE0EEENS1_30default_config_static_selectorELNS0_4arch9wavefront6targetE1EEEvT1_.private_seg_size, 0
	.set _ZN7rocprim17ROCPRIM_400000_NS6detail17trampoline_kernelINS0_14default_configENS1_27scan_by_key_config_selectorImiEEZZNS1_16scan_by_key_implILNS1_25lookback_scan_determinismE0ELb0ES3_N6thrust23THRUST_200600_302600_NS18transform_iteratorI9row_indexNS9_17counting_iteratorImNS9_11use_defaultESD_SD_EESD_SD_EENS9_6detail15normal_iteratorINS9_10device_ptrIiEEEESK_iNS9_4plusIvEENS9_8equal_toIvEEiEE10hipError_tPvRmT2_T3_T4_T5_mT6_T7_P12ihipStream_tbENKUlT_T0_E_clISt17integral_constantIbLb1EES14_IbLb0EEEEDaS10_S11_EUlS10_E_NS1_11comp_targetILNS1_3genE5ELNS1_11target_archE942ELNS1_3gpuE9ELNS1_3repE0EEENS1_30default_config_static_selectorELNS0_4arch9wavefront6targetE1EEEvT1_.uses_vcc, 0
	.set _ZN7rocprim17ROCPRIM_400000_NS6detail17trampoline_kernelINS0_14default_configENS1_27scan_by_key_config_selectorImiEEZZNS1_16scan_by_key_implILNS1_25lookback_scan_determinismE0ELb0ES3_N6thrust23THRUST_200600_302600_NS18transform_iteratorI9row_indexNS9_17counting_iteratorImNS9_11use_defaultESD_SD_EESD_SD_EENS9_6detail15normal_iteratorINS9_10device_ptrIiEEEESK_iNS9_4plusIvEENS9_8equal_toIvEEiEE10hipError_tPvRmT2_T3_T4_T5_mT6_T7_P12ihipStream_tbENKUlT_T0_E_clISt17integral_constantIbLb1EES14_IbLb0EEEEDaS10_S11_EUlS10_E_NS1_11comp_targetILNS1_3genE5ELNS1_11target_archE942ELNS1_3gpuE9ELNS1_3repE0EEENS1_30default_config_static_selectorELNS0_4arch9wavefront6targetE1EEEvT1_.uses_flat_scratch, 0
	.set _ZN7rocprim17ROCPRIM_400000_NS6detail17trampoline_kernelINS0_14default_configENS1_27scan_by_key_config_selectorImiEEZZNS1_16scan_by_key_implILNS1_25lookback_scan_determinismE0ELb0ES3_N6thrust23THRUST_200600_302600_NS18transform_iteratorI9row_indexNS9_17counting_iteratorImNS9_11use_defaultESD_SD_EESD_SD_EENS9_6detail15normal_iteratorINS9_10device_ptrIiEEEESK_iNS9_4plusIvEENS9_8equal_toIvEEiEE10hipError_tPvRmT2_T3_T4_T5_mT6_T7_P12ihipStream_tbENKUlT_T0_E_clISt17integral_constantIbLb1EES14_IbLb0EEEEDaS10_S11_EUlS10_E_NS1_11comp_targetILNS1_3genE5ELNS1_11target_archE942ELNS1_3gpuE9ELNS1_3repE0EEENS1_30default_config_static_selectorELNS0_4arch9wavefront6targetE1EEEvT1_.has_dyn_sized_stack, 0
	.set _ZN7rocprim17ROCPRIM_400000_NS6detail17trampoline_kernelINS0_14default_configENS1_27scan_by_key_config_selectorImiEEZZNS1_16scan_by_key_implILNS1_25lookback_scan_determinismE0ELb0ES3_N6thrust23THRUST_200600_302600_NS18transform_iteratorI9row_indexNS9_17counting_iteratorImNS9_11use_defaultESD_SD_EESD_SD_EENS9_6detail15normal_iteratorINS9_10device_ptrIiEEEESK_iNS9_4plusIvEENS9_8equal_toIvEEiEE10hipError_tPvRmT2_T3_T4_T5_mT6_T7_P12ihipStream_tbENKUlT_T0_E_clISt17integral_constantIbLb1EES14_IbLb0EEEEDaS10_S11_EUlS10_E_NS1_11comp_targetILNS1_3genE5ELNS1_11target_archE942ELNS1_3gpuE9ELNS1_3repE0EEENS1_30default_config_static_selectorELNS0_4arch9wavefront6targetE1EEEvT1_.has_recursion, 0
	.set _ZN7rocprim17ROCPRIM_400000_NS6detail17trampoline_kernelINS0_14default_configENS1_27scan_by_key_config_selectorImiEEZZNS1_16scan_by_key_implILNS1_25lookback_scan_determinismE0ELb0ES3_N6thrust23THRUST_200600_302600_NS18transform_iteratorI9row_indexNS9_17counting_iteratorImNS9_11use_defaultESD_SD_EESD_SD_EENS9_6detail15normal_iteratorINS9_10device_ptrIiEEEESK_iNS9_4plusIvEENS9_8equal_toIvEEiEE10hipError_tPvRmT2_T3_T4_T5_mT6_T7_P12ihipStream_tbENKUlT_T0_E_clISt17integral_constantIbLb1EES14_IbLb0EEEEDaS10_S11_EUlS10_E_NS1_11comp_targetILNS1_3genE5ELNS1_11target_archE942ELNS1_3gpuE9ELNS1_3repE0EEENS1_30default_config_static_selectorELNS0_4arch9wavefront6targetE1EEEvT1_.has_indirect_call, 0
	.section	.AMDGPU.csdata,"",@progbits
; Kernel info:
; codeLenInByte = 0
; TotalNumSgprs: 4
; NumVgprs: 0
; ScratchSize: 0
; MemoryBound: 0
; FloatMode: 240
; IeeeMode: 1
; LDSByteSize: 0 bytes/workgroup (compile time only)
; SGPRBlocks: 0
; VGPRBlocks: 0
; NumSGPRsForWavesPerEU: 4
; NumVGPRsForWavesPerEU: 1
; Occupancy: 10
; WaveLimiterHint : 0
; COMPUTE_PGM_RSRC2:SCRATCH_EN: 0
; COMPUTE_PGM_RSRC2:USER_SGPR: 6
; COMPUTE_PGM_RSRC2:TRAP_HANDLER: 0
; COMPUTE_PGM_RSRC2:TGID_X_EN: 1
; COMPUTE_PGM_RSRC2:TGID_Y_EN: 0
; COMPUTE_PGM_RSRC2:TGID_Z_EN: 0
; COMPUTE_PGM_RSRC2:TIDIG_COMP_CNT: 0
	.section	.text._ZN7rocprim17ROCPRIM_400000_NS6detail17trampoline_kernelINS0_14default_configENS1_27scan_by_key_config_selectorImiEEZZNS1_16scan_by_key_implILNS1_25lookback_scan_determinismE0ELb0ES3_N6thrust23THRUST_200600_302600_NS18transform_iteratorI9row_indexNS9_17counting_iteratorImNS9_11use_defaultESD_SD_EESD_SD_EENS9_6detail15normal_iteratorINS9_10device_ptrIiEEEESK_iNS9_4plusIvEENS9_8equal_toIvEEiEE10hipError_tPvRmT2_T3_T4_T5_mT6_T7_P12ihipStream_tbENKUlT_T0_E_clISt17integral_constantIbLb1EES14_IbLb0EEEEDaS10_S11_EUlS10_E_NS1_11comp_targetILNS1_3genE4ELNS1_11target_archE910ELNS1_3gpuE8ELNS1_3repE0EEENS1_30default_config_static_selectorELNS0_4arch9wavefront6targetE1EEEvT1_,"axG",@progbits,_ZN7rocprim17ROCPRIM_400000_NS6detail17trampoline_kernelINS0_14default_configENS1_27scan_by_key_config_selectorImiEEZZNS1_16scan_by_key_implILNS1_25lookback_scan_determinismE0ELb0ES3_N6thrust23THRUST_200600_302600_NS18transform_iteratorI9row_indexNS9_17counting_iteratorImNS9_11use_defaultESD_SD_EESD_SD_EENS9_6detail15normal_iteratorINS9_10device_ptrIiEEEESK_iNS9_4plusIvEENS9_8equal_toIvEEiEE10hipError_tPvRmT2_T3_T4_T5_mT6_T7_P12ihipStream_tbENKUlT_T0_E_clISt17integral_constantIbLb1EES14_IbLb0EEEEDaS10_S11_EUlS10_E_NS1_11comp_targetILNS1_3genE4ELNS1_11target_archE910ELNS1_3gpuE8ELNS1_3repE0EEENS1_30default_config_static_selectorELNS0_4arch9wavefront6targetE1EEEvT1_,comdat
	.protected	_ZN7rocprim17ROCPRIM_400000_NS6detail17trampoline_kernelINS0_14default_configENS1_27scan_by_key_config_selectorImiEEZZNS1_16scan_by_key_implILNS1_25lookback_scan_determinismE0ELb0ES3_N6thrust23THRUST_200600_302600_NS18transform_iteratorI9row_indexNS9_17counting_iteratorImNS9_11use_defaultESD_SD_EESD_SD_EENS9_6detail15normal_iteratorINS9_10device_ptrIiEEEESK_iNS9_4plusIvEENS9_8equal_toIvEEiEE10hipError_tPvRmT2_T3_T4_T5_mT6_T7_P12ihipStream_tbENKUlT_T0_E_clISt17integral_constantIbLb1EES14_IbLb0EEEEDaS10_S11_EUlS10_E_NS1_11comp_targetILNS1_3genE4ELNS1_11target_archE910ELNS1_3gpuE8ELNS1_3repE0EEENS1_30default_config_static_selectorELNS0_4arch9wavefront6targetE1EEEvT1_ ; -- Begin function _ZN7rocprim17ROCPRIM_400000_NS6detail17trampoline_kernelINS0_14default_configENS1_27scan_by_key_config_selectorImiEEZZNS1_16scan_by_key_implILNS1_25lookback_scan_determinismE0ELb0ES3_N6thrust23THRUST_200600_302600_NS18transform_iteratorI9row_indexNS9_17counting_iteratorImNS9_11use_defaultESD_SD_EESD_SD_EENS9_6detail15normal_iteratorINS9_10device_ptrIiEEEESK_iNS9_4plusIvEENS9_8equal_toIvEEiEE10hipError_tPvRmT2_T3_T4_T5_mT6_T7_P12ihipStream_tbENKUlT_T0_E_clISt17integral_constantIbLb1EES14_IbLb0EEEEDaS10_S11_EUlS10_E_NS1_11comp_targetILNS1_3genE4ELNS1_11target_archE910ELNS1_3gpuE8ELNS1_3repE0EEENS1_30default_config_static_selectorELNS0_4arch9wavefront6targetE1EEEvT1_
	.globl	_ZN7rocprim17ROCPRIM_400000_NS6detail17trampoline_kernelINS0_14default_configENS1_27scan_by_key_config_selectorImiEEZZNS1_16scan_by_key_implILNS1_25lookback_scan_determinismE0ELb0ES3_N6thrust23THRUST_200600_302600_NS18transform_iteratorI9row_indexNS9_17counting_iteratorImNS9_11use_defaultESD_SD_EESD_SD_EENS9_6detail15normal_iteratorINS9_10device_ptrIiEEEESK_iNS9_4plusIvEENS9_8equal_toIvEEiEE10hipError_tPvRmT2_T3_T4_T5_mT6_T7_P12ihipStream_tbENKUlT_T0_E_clISt17integral_constantIbLb1EES14_IbLb0EEEEDaS10_S11_EUlS10_E_NS1_11comp_targetILNS1_3genE4ELNS1_11target_archE910ELNS1_3gpuE8ELNS1_3repE0EEENS1_30default_config_static_selectorELNS0_4arch9wavefront6targetE1EEEvT1_
	.p2align	8
	.type	_ZN7rocprim17ROCPRIM_400000_NS6detail17trampoline_kernelINS0_14default_configENS1_27scan_by_key_config_selectorImiEEZZNS1_16scan_by_key_implILNS1_25lookback_scan_determinismE0ELb0ES3_N6thrust23THRUST_200600_302600_NS18transform_iteratorI9row_indexNS9_17counting_iteratorImNS9_11use_defaultESD_SD_EESD_SD_EENS9_6detail15normal_iteratorINS9_10device_ptrIiEEEESK_iNS9_4plusIvEENS9_8equal_toIvEEiEE10hipError_tPvRmT2_T3_T4_T5_mT6_T7_P12ihipStream_tbENKUlT_T0_E_clISt17integral_constantIbLb1EES14_IbLb0EEEEDaS10_S11_EUlS10_E_NS1_11comp_targetILNS1_3genE4ELNS1_11target_archE910ELNS1_3gpuE8ELNS1_3repE0EEENS1_30default_config_static_selectorELNS0_4arch9wavefront6targetE1EEEvT1_,@function
_ZN7rocprim17ROCPRIM_400000_NS6detail17trampoline_kernelINS0_14default_configENS1_27scan_by_key_config_selectorImiEEZZNS1_16scan_by_key_implILNS1_25lookback_scan_determinismE0ELb0ES3_N6thrust23THRUST_200600_302600_NS18transform_iteratorI9row_indexNS9_17counting_iteratorImNS9_11use_defaultESD_SD_EESD_SD_EENS9_6detail15normal_iteratorINS9_10device_ptrIiEEEESK_iNS9_4plusIvEENS9_8equal_toIvEEiEE10hipError_tPvRmT2_T3_T4_T5_mT6_T7_P12ihipStream_tbENKUlT_T0_E_clISt17integral_constantIbLb1EES14_IbLb0EEEEDaS10_S11_EUlS10_E_NS1_11comp_targetILNS1_3genE4ELNS1_11target_archE910ELNS1_3gpuE8ELNS1_3repE0EEENS1_30default_config_static_selectorELNS0_4arch9wavefront6targetE1EEEvT1_: ; @_ZN7rocprim17ROCPRIM_400000_NS6detail17trampoline_kernelINS0_14default_configENS1_27scan_by_key_config_selectorImiEEZZNS1_16scan_by_key_implILNS1_25lookback_scan_determinismE0ELb0ES3_N6thrust23THRUST_200600_302600_NS18transform_iteratorI9row_indexNS9_17counting_iteratorImNS9_11use_defaultESD_SD_EESD_SD_EENS9_6detail15normal_iteratorINS9_10device_ptrIiEEEESK_iNS9_4plusIvEENS9_8equal_toIvEEiEE10hipError_tPvRmT2_T3_T4_T5_mT6_T7_P12ihipStream_tbENKUlT_T0_E_clISt17integral_constantIbLb1EES14_IbLb0EEEEDaS10_S11_EUlS10_E_NS1_11comp_targetILNS1_3genE4ELNS1_11target_archE910ELNS1_3gpuE8ELNS1_3repE0EEENS1_30default_config_static_selectorELNS0_4arch9wavefront6targetE1EEEvT1_
; %bb.0:
	.section	.rodata,"a",@progbits
	.p2align	6, 0x0
	.amdhsa_kernel _ZN7rocprim17ROCPRIM_400000_NS6detail17trampoline_kernelINS0_14default_configENS1_27scan_by_key_config_selectorImiEEZZNS1_16scan_by_key_implILNS1_25lookback_scan_determinismE0ELb0ES3_N6thrust23THRUST_200600_302600_NS18transform_iteratorI9row_indexNS9_17counting_iteratorImNS9_11use_defaultESD_SD_EESD_SD_EENS9_6detail15normal_iteratorINS9_10device_ptrIiEEEESK_iNS9_4plusIvEENS9_8equal_toIvEEiEE10hipError_tPvRmT2_T3_T4_T5_mT6_T7_P12ihipStream_tbENKUlT_T0_E_clISt17integral_constantIbLb1EES14_IbLb0EEEEDaS10_S11_EUlS10_E_NS1_11comp_targetILNS1_3genE4ELNS1_11target_archE910ELNS1_3gpuE8ELNS1_3repE0EEENS1_30default_config_static_selectorELNS0_4arch9wavefront6targetE1EEEvT1_
		.amdhsa_group_segment_fixed_size 0
		.amdhsa_private_segment_fixed_size 0
		.amdhsa_kernarg_size 120
		.amdhsa_user_sgpr_count 6
		.amdhsa_user_sgpr_private_segment_buffer 1
		.amdhsa_user_sgpr_dispatch_ptr 0
		.amdhsa_user_sgpr_queue_ptr 0
		.amdhsa_user_sgpr_kernarg_segment_ptr 1
		.amdhsa_user_sgpr_dispatch_id 0
		.amdhsa_user_sgpr_flat_scratch_init 0
		.amdhsa_user_sgpr_private_segment_size 0
		.amdhsa_uses_dynamic_stack 0
		.amdhsa_system_sgpr_private_segment_wavefront_offset 0
		.amdhsa_system_sgpr_workgroup_id_x 1
		.amdhsa_system_sgpr_workgroup_id_y 0
		.amdhsa_system_sgpr_workgroup_id_z 0
		.amdhsa_system_sgpr_workgroup_info 0
		.amdhsa_system_vgpr_workitem_id 0
		.amdhsa_next_free_vgpr 1
		.amdhsa_next_free_sgpr 0
		.amdhsa_reserve_vcc 0
		.amdhsa_reserve_flat_scratch 0
		.amdhsa_float_round_mode_32 0
		.amdhsa_float_round_mode_16_64 0
		.amdhsa_float_denorm_mode_32 3
		.amdhsa_float_denorm_mode_16_64 3
		.amdhsa_dx10_clamp 1
		.amdhsa_ieee_mode 1
		.amdhsa_fp16_overflow 0
		.amdhsa_exception_fp_ieee_invalid_op 0
		.amdhsa_exception_fp_denorm_src 0
		.amdhsa_exception_fp_ieee_div_zero 0
		.amdhsa_exception_fp_ieee_overflow 0
		.amdhsa_exception_fp_ieee_underflow 0
		.amdhsa_exception_fp_ieee_inexact 0
		.amdhsa_exception_int_div_zero 0
	.end_amdhsa_kernel
	.section	.text._ZN7rocprim17ROCPRIM_400000_NS6detail17trampoline_kernelINS0_14default_configENS1_27scan_by_key_config_selectorImiEEZZNS1_16scan_by_key_implILNS1_25lookback_scan_determinismE0ELb0ES3_N6thrust23THRUST_200600_302600_NS18transform_iteratorI9row_indexNS9_17counting_iteratorImNS9_11use_defaultESD_SD_EESD_SD_EENS9_6detail15normal_iteratorINS9_10device_ptrIiEEEESK_iNS9_4plusIvEENS9_8equal_toIvEEiEE10hipError_tPvRmT2_T3_T4_T5_mT6_T7_P12ihipStream_tbENKUlT_T0_E_clISt17integral_constantIbLb1EES14_IbLb0EEEEDaS10_S11_EUlS10_E_NS1_11comp_targetILNS1_3genE4ELNS1_11target_archE910ELNS1_3gpuE8ELNS1_3repE0EEENS1_30default_config_static_selectorELNS0_4arch9wavefront6targetE1EEEvT1_,"axG",@progbits,_ZN7rocprim17ROCPRIM_400000_NS6detail17trampoline_kernelINS0_14default_configENS1_27scan_by_key_config_selectorImiEEZZNS1_16scan_by_key_implILNS1_25lookback_scan_determinismE0ELb0ES3_N6thrust23THRUST_200600_302600_NS18transform_iteratorI9row_indexNS9_17counting_iteratorImNS9_11use_defaultESD_SD_EESD_SD_EENS9_6detail15normal_iteratorINS9_10device_ptrIiEEEESK_iNS9_4plusIvEENS9_8equal_toIvEEiEE10hipError_tPvRmT2_T3_T4_T5_mT6_T7_P12ihipStream_tbENKUlT_T0_E_clISt17integral_constantIbLb1EES14_IbLb0EEEEDaS10_S11_EUlS10_E_NS1_11comp_targetILNS1_3genE4ELNS1_11target_archE910ELNS1_3gpuE8ELNS1_3repE0EEENS1_30default_config_static_selectorELNS0_4arch9wavefront6targetE1EEEvT1_,comdat
.Lfunc_end28:
	.size	_ZN7rocprim17ROCPRIM_400000_NS6detail17trampoline_kernelINS0_14default_configENS1_27scan_by_key_config_selectorImiEEZZNS1_16scan_by_key_implILNS1_25lookback_scan_determinismE0ELb0ES3_N6thrust23THRUST_200600_302600_NS18transform_iteratorI9row_indexNS9_17counting_iteratorImNS9_11use_defaultESD_SD_EESD_SD_EENS9_6detail15normal_iteratorINS9_10device_ptrIiEEEESK_iNS9_4plusIvEENS9_8equal_toIvEEiEE10hipError_tPvRmT2_T3_T4_T5_mT6_T7_P12ihipStream_tbENKUlT_T0_E_clISt17integral_constantIbLb1EES14_IbLb0EEEEDaS10_S11_EUlS10_E_NS1_11comp_targetILNS1_3genE4ELNS1_11target_archE910ELNS1_3gpuE8ELNS1_3repE0EEENS1_30default_config_static_selectorELNS0_4arch9wavefront6targetE1EEEvT1_, .Lfunc_end28-_ZN7rocprim17ROCPRIM_400000_NS6detail17trampoline_kernelINS0_14default_configENS1_27scan_by_key_config_selectorImiEEZZNS1_16scan_by_key_implILNS1_25lookback_scan_determinismE0ELb0ES3_N6thrust23THRUST_200600_302600_NS18transform_iteratorI9row_indexNS9_17counting_iteratorImNS9_11use_defaultESD_SD_EESD_SD_EENS9_6detail15normal_iteratorINS9_10device_ptrIiEEEESK_iNS9_4plusIvEENS9_8equal_toIvEEiEE10hipError_tPvRmT2_T3_T4_T5_mT6_T7_P12ihipStream_tbENKUlT_T0_E_clISt17integral_constantIbLb1EES14_IbLb0EEEEDaS10_S11_EUlS10_E_NS1_11comp_targetILNS1_3genE4ELNS1_11target_archE910ELNS1_3gpuE8ELNS1_3repE0EEENS1_30default_config_static_selectorELNS0_4arch9wavefront6targetE1EEEvT1_
                                        ; -- End function
	.set _ZN7rocprim17ROCPRIM_400000_NS6detail17trampoline_kernelINS0_14default_configENS1_27scan_by_key_config_selectorImiEEZZNS1_16scan_by_key_implILNS1_25lookback_scan_determinismE0ELb0ES3_N6thrust23THRUST_200600_302600_NS18transform_iteratorI9row_indexNS9_17counting_iteratorImNS9_11use_defaultESD_SD_EESD_SD_EENS9_6detail15normal_iteratorINS9_10device_ptrIiEEEESK_iNS9_4plusIvEENS9_8equal_toIvEEiEE10hipError_tPvRmT2_T3_T4_T5_mT6_T7_P12ihipStream_tbENKUlT_T0_E_clISt17integral_constantIbLb1EES14_IbLb0EEEEDaS10_S11_EUlS10_E_NS1_11comp_targetILNS1_3genE4ELNS1_11target_archE910ELNS1_3gpuE8ELNS1_3repE0EEENS1_30default_config_static_selectorELNS0_4arch9wavefront6targetE1EEEvT1_.num_vgpr, 0
	.set _ZN7rocprim17ROCPRIM_400000_NS6detail17trampoline_kernelINS0_14default_configENS1_27scan_by_key_config_selectorImiEEZZNS1_16scan_by_key_implILNS1_25lookback_scan_determinismE0ELb0ES3_N6thrust23THRUST_200600_302600_NS18transform_iteratorI9row_indexNS9_17counting_iteratorImNS9_11use_defaultESD_SD_EESD_SD_EENS9_6detail15normal_iteratorINS9_10device_ptrIiEEEESK_iNS9_4plusIvEENS9_8equal_toIvEEiEE10hipError_tPvRmT2_T3_T4_T5_mT6_T7_P12ihipStream_tbENKUlT_T0_E_clISt17integral_constantIbLb1EES14_IbLb0EEEEDaS10_S11_EUlS10_E_NS1_11comp_targetILNS1_3genE4ELNS1_11target_archE910ELNS1_3gpuE8ELNS1_3repE0EEENS1_30default_config_static_selectorELNS0_4arch9wavefront6targetE1EEEvT1_.num_agpr, 0
	.set _ZN7rocprim17ROCPRIM_400000_NS6detail17trampoline_kernelINS0_14default_configENS1_27scan_by_key_config_selectorImiEEZZNS1_16scan_by_key_implILNS1_25lookback_scan_determinismE0ELb0ES3_N6thrust23THRUST_200600_302600_NS18transform_iteratorI9row_indexNS9_17counting_iteratorImNS9_11use_defaultESD_SD_EESD_SD_EENS9_6detail15normal_iteratorINS9_10device_ptrIiEEEESK_iNS9_4plusIvEENS9_8equal_toIvEEiEE10hipError_tPvRmT2_T3_T4_T5_mT6_T7_P12ihipStream_tbENKUlT_T0_E_clISt17integral_constantIbLb1EES14_IbLb0EEEEDaS10_S11_EUlS10_E_NS1_11comp_targetILNS1_3genE4ELNS1_11target_archE910ELNS1_3gpuE8ELNS1_3repE0EEENS1_30default_config_static_selectorELNS0_4arch9wavefront6targetE1EEEvT1_.numbered_sgpr, 0
	.set _ZN7rocprim17ROCPRIM_400000_NS6detail17trampoline_kernelINS0_14default_configENS1_27scan_by_key_config_selectorImiEEZZNS1_16scan_by_key_implILNS1_25lookback_scan_determinismE0ELb0ES3_N6thrust23THRUST_200600_302600_NS18transform_iteratorI9row_indexNS9_17counting_iteratorImNS9_11use_defaultESD_SD_EESD_SD_EENS9_6detail15normal_iteratorINS9_10device_ptrIiEEEESK_iNS9_4plusIvEENS9_8equal_toIvEEiEE10hipError_tPvRmT2_T3_T4_T5_mT6_T7_P12ihipStream_tbENKUlT_T0_E_clISt17integral_constantIbLb1EES14_IbLb0EEEEDaS10_S11_EUlS10_E_NS1_11comp_targetILNS1_3genE4ELNS1_11target_archE910ELNS1_3gpuE8ELNS1_3repE0EEENS1_30default_config_static_selectorELNS0_4arch9wavefront6targetE1EEEvT1_.num_named_barrier, 0
	.set _ZN7rocprim17ROCPRIM_400000_NS6detail17trampoline_kernelINS0_14default_configENS1_27scan_by_key_config_selectorImiEEZZNS1_16scan_by_key_implILNS1_25lookback_scan_determinismE0ELb0ES3_N6thrust23THRUST_200600_302600_NS18transform_iteratorI9row_indexNS9_17counting_iteratorImNS9_11use_defaultESD_SD_EESD_SD_EENS9_6detail15normal_iteratorINS9_10device_ptrIiEEEESK_iNS9_4plusIvEENS9_8equal_toIvEEiEE10hipError_tPvRmT2_T3_T4_T5_mT6_T7_P12ihipStream_tbENKUlT_T0_E_clISt17integral_constantIbLb1EES14_IbLb0EEEEDaS10_S11_EUlS10_E_NS1_11comp_targetILNS1_3genE4ELNS1_11target_archE910ELNS1_3gpuE8ELNS1_3repE0EEENS1_30default_config_static_selectorELNS0_4arch9wavefront6targetE1EEEvT1_.private_seg_size, 0
	.set _ZN7rocprim17ROCPRIM_400000_NS6detail17trampoline_kernelINS0_14default_configENS1_27scan_by_key_config_selectorImiEEZZNS1_16scan_by_key_implILNS1_25lookback_scan_determinismE0ELb0ES3_N6thrust23THRUST_200600_302600_NS18transform_iteratorI9row_indexNS9_17counting_iteratorImNS9_11use_defaultESD_SD_EESD_SD_EENS9_6detail15normal_iteratorINS9_10device_ptrIiEEEESK_iNS9_4plusIvEENS9_8equal_toIvEEiEE10hipError_tPvRmT2_T3_T4_T5_mT6_T7_P12ihipStream_tbENKUlT_T0_E_clISt17integral_constantIbLb1EES14_IbLb0EEEEDaS10_S11_EUlS10_E_NS1_11comp_targetILNS1_3genE4ELNS1_11target_archE910ELNS1_3gpuE8ELNS1_3repE0EEENS1_30default_config_static_selectorELNS0_4arch9wavefront6targetE1EEEvT1_.uses_vcc, 0
	.set _ZN7rocprim17ROCPRIM_400000_NS6detail17trampoline_kernelINS0_14default_configENS1_27scan_by_key_config_selectorImiEEZZNS1_16scan_by_key_implILNS1_25lookback_scan_determinismE0ELb0ES3_N6thrust23THRUST_200600_302600_NS18transform_iteratorI9row_indexNS9_17counting_iteratorImNS9_11use_defaultESD_SD_EESD_SD_EENS9_6detail15normal_iteratorINS9_10device_ptrIiEEEESK_iNS9_4plusIvEENS9_8equal_toIvEEiEE10hipError_tPvRmT2_T3_T4_T5_mT6_T7_P12ihipStream_tbENKUlT_T0_E_clISt17integral_constantIbLb1EES14_IbLb0EEEEDaS10_S11_EUlS10_E_NS1_11comp_targetILNS1_3genE4ELNS1_11target_archE910ELNS1_3gpuE8ELNS1_3repE0EEENS1_30default_config_static_selectorELNS0_4arch9wavefront6targetE1EEEvT1_.uses_flat_scratch, 0
	.set _ZN7rocprim17ROCPRIM_400000_NS6detail17trampoline_kernelINS0_14default_configENS1_27scan_by_key_config_selectorImiEEZZNS1_16scan_by_key_implILNS1_25lookback_scan_determinismE0ELb0ES3_N6thrust23THRUST_200600_302600_NS18transform_iteratorI9row_indexNS9_17counting_iteratorImNS9_11use_defaultESD_SD_EESD_SD_EENS9_6detail15normal_iteratorINS9_10device_ptrIiEEEESK_iNS9_4plusIvEENS9_8equal_toIvEEiEE10hipError_tPvRmT2_T3_T4_T5_mT6_T7_P12ihipStream_tbENKUlT_T0_E_clISt17integral_constantIbLb1EES14_IbLb0EEEEDaS10_S11_EUlS10_E_NS1_11comp_targetILNS1_3genE4ELNS1_11target_archE910ELNS1_3gpuE8ELNS1_3repE0EEENS1_30default_config_static_selectorELNS0_4arch9wavefront6targetE1EEEvT1_.has_dyn_sized_stack, 0
	.set _ZN7rocprim17ROCPRIM_400000_NS6detail17trampoline_kernelINS0_14default_configENS1_27scan_by_key_config_selectorImiEEZZNS1_16scan_by_key_implILNS1_25lookback_scan_determinismE0ELb0ES3_N6thrust23THRUST_200600_302600_NS18transform_iteratorI9row_indexNS9_17counting_iteratorImNS9_11use_defaultESD_SD_EESD_SD_EENS9_6detail15normal_iteratorINS9_10device_ptrIiEEEESK_iNS9_4plusIvEENS9_8equal_toIvEEiEE10hipError_tPvRmT2_T3_T4_T5_mT6_T7_P12ihipStream_tbENKUlT_T0_E_clISt17integral_constantIbLb1EES14_IbLb0EEEEDaS10_S11_EUlS10_E_NS1_11comp_targetILNS1_3genE4ELNS1_11target_archE910ELNS1_3gpuE8ELNS1_3repE0EEENS1_30default_config_static_selectorELNS0_4arch9wavefront6targetE1EEEvT1_.has_recursion, 0
	.set _ZN7rocprim17ROCPRIM_400000_NS6detail17trampoline_kernelINS0_14default_configENS1_27scan_by_key_config_selectorImiEEZZNS1_16scan_by_key_implILNS1_25lookback_scan_determinismE0ELb0ES3_N6thrust23THRUST_200600_302600_NS18transform_iteratorI9row_indexNS9_17counting_iteratorImNS9_11use_defaultESD_SD_EESD_SD_EENS9_6detail15normal_iteratorINS9_10device_ptrIiEEEESK_iNS9_4plusIvEENS9_8equal_toIvEEiEE10hipError_tPvRmT2_T3_T4_T5_mT6_T7_P12ihipStream_tbENKUlT_T0_E_clISt17integral_constantIbLb1EES14_IbLb0EEEEDaS10_S11_EUlS10_E_NS1_11comp_targetILNS1_3genE4ELNS1_11target_archE910ELNS1_3gpuE8ELNS1_3repE0EEENS1_30default_config_static_selectorELNS0_4arch9wavefront6targetE1EEEvT1_.has_indirect_call, 0
	.section	.AMDGPU.csdata,"",@progbits
; Kernel info:
; codeLenInByte = 0
; TotalNumSgprs: 4
; NumVgprs: 0
; ScratchSize: 0
; MemoryBound: 0
; FloatMode: 240
; IeeeMode: 1
; LDSByteSize: 0 bytes/workgroup (compile time only)
; SGPRBlocks: 0
; VGPRBlocks: 0
; NumSGPRsForWavesPerEU: 4
; NumVGPRsForWavesPerEU: 1
; Occupancy: 10
; WaveLimiterHint : 0
; COMPUTE_PGM_RSRC2:SCRATCH_EN: 0
; COMPUTE_PGM_RSRC2:USER_SGPR: 6
; COMPUTE_PGM_RSRC2:TRAP_HANDLER: 0
; COMPUTE_PGM_RSRC2:TGID_X_EN: 1
; COMPUTE_PGM_RSRC2:TGID_Y_EN: 0
; COMPUTE_PGM_RSRC2:TGID_Z_EN: 0
; COMPUTE_PGM_RSRC2:TIDIG_COMP_CNT: 0
	.section	.text._ZN7rocprim17ROCPRIM_400000_NS6detail17trampoline_kernelINS0_14default_configENS1_27scan_by_key_config_selectorImiEEZZNS1_16scan_by_key_implILNS1_25lookback_scan_determinismE0ELb0ES3_N6thrust23THRUST_200600_302600_NS18transform_iteratorI9row_indexNS9_17counting_iteratorImNS9_11use_defaultESD_SD_EESD_SD_EENS9_6detail15normal_iteratorINS9_10device_ptrIiEEEESK_iNS9_4plusIvEENS9_8equal_toIvEEiEE10hipError_tPvRmT2_T3_T4_T5_mT6_T7_P12ihipStream_tbENKUlT_T0_E_clISt17integral_constantIbLb1EES14_IbLb0EEEEDaS10_S11_EUlS10_E_NS1_11comp_targetILNS1_3genE3ELNS1_11target_archE908ELNS1_3gpuE7ELNS1_3repE0EEENS1_30default_config_static_selectorELNS0_4arch9wavefront6targetE1EEEvT1_,"axG",@progbits,_ZN7rocprim17ROCPRIM_400000_NS6detail17trampoline_kernelINS0_14default_configENS1_27scan_by_key_config_selectorImiEEZZNS1_16scan_by_key_implILNS1_25lookback_scan_determinismE0ELb0ES3_N6thrust23THRUST_200600_302600_NS18transform_iteratorI9row_indexNS9_17counting_iteratorImNS9_11use_defaultESD_SD_EESD_SD_EENS9_6detail15normal_iteratorINS9_10device_ptrIiEEEESK_iNS9_4plusIvEENS9_8equal_toIvEEiEE10hipError_tPvRmT2_T3_T4_T5_mT6_T7_P12ihipStream_tbENKUlT_T0_E_clISt17integral_constantIbLb1EES14_IbLb0EEEEDaS10_S11_EUlS10_E_NS1_11comp_targetILNS1_3genE3ELNS1_11target_archE908ELNS1_3gpuE7ELNS1_3repE0EEENS1_30default_config_static_selectorELNS0_4arch9wavefront6targetE1EEEvT1_,comdat
	.protected	_ZN7rocprim17ROCPRIM_400000_NS6detail17trampoline_kernelINS0_14default_configENS1_27scan_by_key_config_selectorImiEEZZNS1_16scan_by_key_implILNS1_25lookback_scan_determinismE0ELb0ES3_N6thrust23THRUST_200600_302600_NS18transform_iteratorI9row_indexNS9_17counting_iteratorImNS9_11use_defaultESD_SD_EESD_SD_EENS9_6detail15normal_iteratorINS9_10device_ptrIiEEEESK_iNS9_4plusIvEENS9_8equal_toIvEEiEE10hipError_tPvRmT2_T3_T4_T5_mT6_T7_P12ihipStream_tbENKUlT_T0_E_clISt17integral_constantIbLb1EES14_IbLb0EEEEDaS10_S11_EUlS10_E_NS1_11comp_targetILNS1_3genE3ELNS1_11target_archE908ELNS1_3gpuE7ELNS1_3repE0EEENS1_30default_config_static_selectorELNS0_4arch9wavefront6targetE1EEEvT1_ ; -- Begin function _ZN7rocprim17ROCPRIM_400000_NS6detail17trampoline_kernelINS0_14default_configENS1_27scan_by_key_config_selectorImiEEZZNS1_16scan_by_key_implILNS1_25lookback_scan_determinismE0ELb0ES3_N6thrust23THRUST_200600_302600_NS18transform_iteratorI9row_indexNS9_17counting_iteratorImNS9_11use_defaultESD_SD_EESD_SD_EENS9_6detail15normal_iteratorINS9_10device_ptrIiEEEESK_iNS9_4plusIvEENS9_8equal_toIvEEiEE10hipError_tPvRmT2_T3_T4_T5_mT6_T7_P12ihipStream_tbENKUlT_T0_E_clISt17integral_constantIbLb1EES14_IbLb0EEEEDaS10_S11_EUlS10_E_NS1_11comp_targetILNS1_3genE3ELNS1_11target_archE908ELNS1_3gpuE7ELNS1_3repE0EEENS1_30default_config_static_selectorELNS0_4arch9wavefront6targetE1EEEvT1_
	.globl	_ZN7rocprim17ROCPRIM_400000_NS6detail17trampoline_kernelINS0_14default_configENS1_27scan_by_key_config_selectorImiEEZZNS1_16scan_by_key_implILNS1_25lookback_scan_determinismE0ELb0ES3_N6thrust23THRUST_200600_302600_NS18transform_iteratorI9row_indexNS9_17counting_iteratorImNS9_11use_defaultESD_SD_EESD_SD_EENS9_6detail15normal_iteratorINS9_10device_ptrIiEEEESK_iNS9_4plusIvEENS9_8equal_toIvEEiEE10hipError_tPvRmT2_T3_T4_T5_mT6_T7_P12ihipStream_tbENKUlT_T0_E_clISt17integral_constantIbLb1EES14_IbLb0EEEEDaS10_S11_EUlS10_E_NS1_11comp_targetILNS1_3genE3ELNS1_11target_archE908ELNS1_3gpuE7ELNS1_3repE0EEENS1_30default_config_static_selectorELNS0_4arch9wavefront6targetE1EEEvT1_
	.p2align	8
	.type	_ZN7rocprim17ROCPRIM_400000_NS6detail17trampoline_kernelINS0_14default_configENS1_27scan_by_key_config_selectorImiEEZZNS1_16scan_by_key_implILNS1_25lookback_scan_determinismE0ELb0ES3_N6thrust23THRUST_200600_302600_NS18transform_iteratorI9row_indexNS9_17counting_iteratorImNS9_11use_defaultESD_SD_EESD_SD_EENS9_6detail15normal_iteratorINS9_10device_ptrIiEEEESK_iNS9_4plusIvEENS9_8equal_toIvEEiEE10hipError_tPvRmT2_T3_T4_T5_mT6_T7_P12ihipStream_tbENKUlT_T0_E_clISt17integral_constantIbLb1EES14_IbLb0EEEEDaS10_S11_EUlS10_E_NS1_11comp_targetILNS1_3genE3ELNS1_11target_archE908ELNS1_3gpuE7ELNS1_3repE0EEENS1_30default_config_static_selectorELNS0_4arch9wavefront6targetE1EEEvT1_,@function
_ZN7rocprim17ROCPRIM_400000_NS6detail17trampoline_kernelINS0_14default_configENS1_27scan_by_key_config_selectorImiEEZZNS1_16scan_by_key_implILNS1_25lookback_scan_determinismE0ELb0ES3_N6thrust23THRUST_200600_302600_NS18transform_iteratorI9row_indexNS9_17counting_iteratorImNS9_11use_defaultESD_SD_EESD_SD_EENS9_6detail15normal_iteratorINS9_10device_ptrIiEEEESK_iNS9_4plusIvEENS9_8equal_toIvEEiEE10hipError_tPvRmT2_T3_T4_T5_mT6_T7_P12ihipStream_tbENKUlT_T0_E_clISt17integral_constantIbLb1EES14_IbLb0EEEEDaS10_S11_EUlS10_E_NS1_11comp_targetILNS1_3genE3ELNS1_11target_archE908ELNS1_3gpuE7ELNS1_3repE0EEENS1_30default_config_static_selectorELNS0_4arch9wavefront6targetE1EEEvT1_: ; @_ZN7rocprim17ROCPRIM_400000_NS6detail17trampoline_kernelINS0_14default_configENS1_27scan_by_key_config_selectorImiEEZZNS1_16scan_by_key_implILNS1_25lookback_scan_determinismE0ELb0ES3_N6thrust23THRUST_200600_302600_NS18transform_iteratorI9row_indexNS9_17counting_iteratorImNS9_11use_defaultESD_SD_EESD_SD_EENS9_6detail15normal_iteratorINS9_10device_ptrIiEEEESK_iNS9_4plusIvEENS9_8equal_toIvEEiEE10hipError_tPvRmT2_T3_T4_T5_mT6_T7_P12ihipStream_tbENKUlT_T0_E_clISt17integral_constantIbLb1EES14_IbLb0EEEEDaS10_S11_EUlS10_E_NS1_11comp_targetILNS1_3genE3ELNS1_11target_archE908ELNS1_3gpuE7ELNS1_3repE0EEENS1_30default_config_static_selectorELNS0_4arch9wavefront6targetE1EEEvT1_
; %bb.0:
	.section	.rodata,"a",@progbits
	.p2align	6, 0x0
	.amdhsa_kernel _ZN7rocprim17ROCPRIM_400000_NS6detail17trampoline_kernelINS0_14default_configENS1_27scan_by_key_config_selectorImiEEZZNS1_16scan_by_key_implILNS1_25lookback_scan_determinismE0ELb0ES3_N6thrust23THRUST_200600_302600_NS18transform_iteratorI9row_indexNS9_17counting_iteratorImNS9_11use_defaultESD_SD_EESD_SD_EENS9_6detail15normal_iteratorINS9_10device_ptrIiEEEESK_iNS9_4plusIvEENS9_8equal_toIvEEiEE10hipError_tPvRmT2_T3_T4_T5_mT6_T7_P12ihipStream_tbENKUlT_T0_E_clISt17integral_constantIbLb1EES14_IbLb0EEEEDaS10_S11_EUlS10_E_NS1_11comp_targetILNS1_3genE3ELNS1_11target_archE908ELNS1_3gpuE7ELNS1_3repE0EEENS1_30default_config_static_selectorELNS0_4arch9wavefront6targetE1EEEvT1_
		.amdhsa_group_segment_fixed_size 0
		.amdhsa_private_segment_fixed_size 0
		.amdhsa_kernarg_size 120
		.amdhsa_user_sgpr_count 6
		.amdhsa_user_sgpr_private_segment_buffer 1
		.amdhsa_user_sgpr_dispatch_ptr 0
		.amdhsa_user_sgpr_queue_ptr 0
		.amdhsa_user_sgpr_kernarg_segment_ptr 1
		.amdhsa_user_sgpr_dispatch_id 0
		.amdhsa_user_sgpr_flat_scratch_init 0
		.amdhsa_user_sgpr_private_segment_size 0
		.amdhsa_uses_dynamic_stack 0
		.amdhsa_system_sgpr_private_segment_wavefront_offset 0
		.amdhsa_system_sgpr_workgroup_id_x 1
		.amdhsa_system_sgpr_workgroup_id_y 0
		.amdhsa_system_sgpr_workgroup_id_z 0
		.amdhsa_system_sgpr_workgroup_info 0
		.amdhsa_system_vgpr_workitem_id 0
		.amdhsa_next_free_vgpr 1
		.amdhsa_next_free_sgpr 0
		.amdhsa_reserve_vcc 0
		.amdhsa_reserve_flat_scratch 0
		.amdhsa_float_round_mode_32 0
		.amdhsa_float_round_mode_16_64 0
		.amdhsa_float_denorm_mode_32 3
		.amdhsa_float_denorm_mode_16_64 3
		.amdhsa_dx10_clamp 1
		.amdhsa_ieee_mode 1
		.amdhsa_fp16_overflow 0
		.amdhsa_exception_fp_ieee_invalid_op 0
		.amdhsa_exception_fp_denorm_src 0
		.amdhsa_exception_fp_ieee_div_zero 0
		.amdhsa_exception_fp_ieee_overflow 0
		.amdhsa_exception_fp_ieee_underflow 0
		.amdhsa_exception_fp_ieee_inexact 0
		.amdhsa_exception_int_div_zero 0
	.end_amdhsa_kernel
	.section	.text._ZN7rocprim17ROCPRIM_400000_NS6detail17trampoline_kernelINS0_14default_configENS1_27scan_by_key_config_selectorImiEEZZNS1_16scan_by_key_implILNS1_25lookback_scan_determinismE0ELb0ES3_N6thrust23THRUST_200600_302600_NS18transform_iteratorI9row_indexNS9_17counting_iteratorImNS9_11use_defaultESD_SD_EESD_SD_EENS9_6detail15normal_iteratorINS9_10device_ptrIiEEEESK_iNS9_4plusIvEENS9_8equal_toIvEEiEE10hipError_tPvRmT2_T3_T4_T5_mT6_T7_P12ihipStream_tbENKUlT_T0_E_clISt17integral_constantIbLb1EES14_IbLb0EEEEDaS10_S11_EUlS10_E_NS1_11comp_targetILNS1_3genE3ELNS1_11target_archE908ELNS1_3gpuE7ELNS1_3repE0EEENS1_30default_config_static_selectorELNS0_4arch9wavefront6targetE1EEEvT1_,"axG",@progbits,_ZN7rocprim17ROCPRIM_400000_NS6detail17trampoline_kernelINS0_14default_configENS1_27scan_by_key_config_selectorImiEEZZNS1_16scan_by_key_implILNS1_25lookback_scan_determinismE0ELb0ES3_N6thrust23THRUST_200600_302600_NS18transform_iteratorI9row_indexNS9_17counting_iteratorImNS9_11use_defaultESD_SD_EESD_SD_EENS9_6detail15normal_iteratorINS9_10device_ptrIiEEEESK_iNS9_4plusIvEENS9_8equal_toIvEEiEE10hipError_tPvRmT2_T3_T4_T5_mT6_T7_P12ihipStream_tbENKUlT_T0_E_clISt17integral_constantIbLb1EES14_IbLb0EEEEDaS10_S11_EUlS10_E_NS1_11comp_targetILNS1_3genE3ELNS1_11target_archE908ELNS1_3gpuE7ELNS1_3repE0EEENS1_30default_config_static_selectorELNS0_4arch9wavefront6targetE1EEEvT1_,comdat
.Lfunc_end29:
	.size	_ZN7rocprim17ROCPRIM_400000_NS6detail17trampoline_kernelINS0_14default_configENS1_27scan_by_key_config_selectorImiEEZZNS1_16scan_by_key_implILNS1_25lookback_scan_determinismE0ELb0ES3_N6thrust23THRUST_200600_302600_NS18transform_iteratorI9row_indexNS9_17counting_iteratorImNS9_11use_defaultESD_SD_EESD_SD_EENS9_6detail15normal_iteratorINS9_10device_ptrIiEEEESK_iNS9_4plusIvEENS9_8equal_toIvEEiEE10hipError_tPvRmT2_T3_T4_T5_mT6_T7_P12ihipStream_tbENKUlT_T0_E_clISt17integral_constantIbLb1EES14_IbLb0EEEEDaS10_S11_EUlS10_E_NS1_11comp_targetILNS1_3genE3ELNS1_11target_archE908ELNS1_3gpuE7ELNS1_3repE0EEENS1_30default_config_static_selectorELNS0_4arch9wavefront6targetE1EEEvT1_, .Lfunc_end29-_ZN7rocprim17ROCPRIM_400000_NS6detail17trampoline_kernelINS0_14default_configENS1_27scan_by_key_config_selectorImiEEZZNS1_16scan_by_key_implILNS1_25lookback_scan_determinismE0ELb0ES3_N6thrust23THRUST_200600_302600_NS18transform_iteratorI9row_indexNS9_17counting_iteratorImNS9_11use_defaultESD_SD_EESD_SD_EENS9_6detail15normal_iteratorINS9_10device_ptrIiEEEESK_iNS9_4plusIvEENS9_8equal_toIvEEiEE10hipError_tPvRmT2_T3_T4_T5_mT6_T7_P12ihipStream_tbENKUlT_T0_E_clISt17integral_constantIbLb1EES14_IbLb0EEEEDaS10_S11_EUlS10_E_NS1_11comp_targetILNS1_3genE3ELNS1_11target_archE908ELNS1_3gpuE7ELNS1_3repE0EEENS1_30default_config_static_selectorELNS0_4arch9wavefront6targetE1EEEvT1_
                                        ; -- End function
	.set _ZN7rocprim17ROCPRIM_400000_NS6detail17trampoline_kernelINS0_14default_configENS1_27scan_by_key_config_selectorImiEEZZNS1_16scan_by_key_implILNS1_25lookback_scan_determinismE0ELb0ES3_N6thrust23THRUST_200600_302600_NS18transform_iteratorI9row_indexNS9_17counting_iteratorImNS9_11use_defaultESD_SD_EESD_SD_EENS9_6detail15normal_iteratorINS9_10device_ptrIiEEEESK_iNS9_4plusIvEENS9_8equal_toIvEEiEE10hipError_tPvRmT2_T3_T4_T5_mT6_T7_P12ihipStream_tbENKUlT_T0_E_clISt17integral_constantIbLb1EES14_IbLb0EEEEDaS10_S11_EUlS10_E_NS1_11comp_targetILNS1_3genE3ELNS1_11target_archE908ELNS1_3gpuE7ELNS1_3repE0EEENS1_30default_config_static_selectorELNS0_4arch9wavefront6targetE1EEEvT1_.num_vgpr, 0
	.set _ZN7rocprim17ROCPRIM_400000_NS6detail17trampoline_kernelINS0_14default_configENS1_27scan_by_key_config_selectorImiEEZZNS1_16scan_by_key_implILNS1_25lookback_scan_determinismE0ELb0ES3_N6thrust23THRUST_200600_302600_NS18transform_iteratorI9row_indexNS9_17counting_iteratorImNS9_11use_defaultESD_SD_EESD_SD_EENS9_6detail15normal_iteratorINS9_10device_ptrIiEEEESK_iNS9_4plusIvEENS9_8equal_toIvEEiEE10hipError_tPvRmT2_T3_T4_T5_mT6_T7_P12ihipStream_tbENKUlT_T0_E_clISt17integral_constantIbLb1EES14_IbLb0EEEEDaS10_S11_EUlS10_E_NS1_11comp_targetILNS1_3genE3ELNS1_11target_archE908ELNS1_3gpuE7ELNS1_3repE0EEENS1_30default_config_static_selectorELNS0_4arch9wavefront6targetE1EEEvT1_.num_agpr, 0
	.set _ZN7rocprim17ROCPRIM_400000_NS6detail17trampoline_kernelINS0_14default_configENS1_27scan_by_key_config_selectorImiEEZZNS1_16scan_by_key_implILNS1_25lookback_scan_determinismE0ELb0ES3_N6thrust23THRUST_200600_302600_NS18transform_iteratorI9row_indexNS9_17counting_iteratorImNS9_11use_defaultESD_SD_EESD_SD_EENS9_6detail15normal_iteratorINS9_10device_ptrIiEEEESK_iNS9_4plusIvEENS9_8equal_toIvEEiEE10hipError_tPvRmT2_T3_T4_T5_mT6_T7_P12ihipStream_tbENKUlT_T0_E_clISt17integral_constantIbLb1EES14_IbLb0EEEEDaS10_S11_EUlS10_E_NS1_11comp_targetILNS1_3genE3ELNS1_11target_archE908ELNS1_3gpuE7ELNS1_3repE0EEENS1_30default_config_static_selectorELNS0_4arch9wavefront6targetE1EEEvT1_.numbered_sgpr, 0
	.set _ZN7rocprim17ROCPRIM_400000_NS6detail17trampoline_kernelINS0_14default_configENS1_27scan_by_key_config_selectorImiEEZZNS1_16scan_by_key_implILNS1_25lookback_scan_determinismE0ELb0ES3_N6thrust23THRUST_200600_302600_NS18transform_iteratorI9row_indexNS9_17counting_iteratorImNS9_11use_defaultESD_SD_EESD_SD_EENS9_6detail15normal_iteratorINS9_10device_ptrIiEEEESK_iNS9_4plusIvEENS9_8equal_toIvEEiEE10hipError_tPvRmT2_T3_T4_T5_mT6_T7_P12ihipStream_tbENKUlT_T0_E_clISt17integral_constantIbLb1EES14_IbLb0EEEEDaS10_S11_EUlS10_E_NS1_11comp_targetILNS1_3genE3ELNS1_11target_archE908ELNS1_3gpuE7ELNS1_3repE0EEENS1_30default_config_static_selectorELNS0_4arch9wavefront6targetE1EEEvT1_.num_named_barrier, 0
	.set _ZN7rocprim17ROCPRIM_400000_NS6detail17trampoline_kernelINS0_14default_configENS1_27scan_by_key_config_selectorImiEEZZNS1_16scan_by_key_implILNS1_25lookback_scan_determinismE0ELb0ES3_N6thrust23THRUST_200600_302600_NS18transform_iteratorI9row_indexNS9_17counting_iteratorImNS9_11use_defaultESD_SD_EESD_SD_EENS9_6detail15normal_iteratorINS9_10device_ptrIiEEEESK_iNS9_4plusIvEENS9_8equal_toIvEEiEE10hipError_tPvRmT2_T3_T4_T5_mT6_T7_P12ihipStream_tbENKUlT_T0_E_clISt17integral_constantIbLb1EES14_IbLb0EEEEDaS10_S11_EUlS10_E_NS1_11comp_targetILNS1_3genE3ELNS1_11target_archE908ELNS1_3gpuE7ELNS1_3repE0EEENS1_30default_config_static_selectorELNS0_4arch9wavefront6targetE1EEEvT1_.private_seg_size, 0
	.set _ZN7rocprim17ROCPRIM_400000_NS6detail17trampoline_kernelINS0_14default_configENS1_27scan_by_key_config_selectorImiEEZZNS1_16scan_by_key_implILNS1_25lookback_scan_determinismE0ELb0ES3_N6thrust23THRUST_200600_302600_NS18transform_iteratorI9row_indexNS9_17counting_iteratorImNS9_11use_defaultESD_SD_EESD_SD_EENS9_6detail15normal_iteratorINS9_10device_ptrIiEEEESK_iNS9_4plusIvEENS9_8equal_toIvEEiEE10hipError_tPvRmT2_T3_T4_T5_mT6_T7_P12ihipStream_tbENKUlT_T0_E_clISt17integral_constantIbLb1EES14_IbLb0EEEEDaS10_S11_EUlS10_E_NS1_11comp_targetILNS1_3genE3ELNS1_11target_archE908ELNS1_3gpuE7ELNS1_3repE0EEENS1_30default_config_static_selectorELNS0_4arch9wavefront6targetE1EEEvT1_.uses_vcc, 0
	.set _ZN7rocprim17ROCPRIM_400000_NS6detail17trampoline_kernelINS0_14default_configENS1_27scan_by_key_config_selectorImiEEZZNS1_16scan_by_key_implILNS1_25lookback_scan_determinismE0ELb0ES3_N6thrust23THRUST_200600_302600_NS18transform_iteratorI9row_indexNS9_17counting_iteratorImNS9_11use_defaultESD_SD_EESD_SD_EENS9_6detail15normal_iteratorINS9_10device_ptrIiEEEESK_iNS9_4plusIvEENS9_8equal_toIvEEiEE10hipError_tPvRmT2_T3_T4_T5_mT6_T7_P12ihipStream_tbENKUlT_T0_E_clISt17integral_constantIbLb1EES14_IbLb0EEEEDaS10_S11_EUlS10_E_NS1_11comp_targetILNS1_3genE3ELNS1_11target_archE908ELNS1_3gpuE7ELNS1_3repE0EEENS1_30default_config_static_selectorELNS0_4arch9wavefront6targetE1EEEvT1_.uses_flat_scratch, 0
	.set _ZN7rocprim17ROCPRIM_400000_NS6detail17trampoline_kernelINS0_14default_configENS1_27scan_by_key_config_selectorImiEEZZNS1_16scan_by_key_implILNS1_25lookback_scan_determinismE0ELb0ES3_N6thrust23THRUST_200600_302600_NS18transform_iteratorI9row_indexNS9_17counting_iteratorImNS9_11use_defaultESD_SD_EESD_SD_EENS9_6detail15normal_iteratorINS9_10device_ptrIiEEEESK_iNS9_4plusIvEENS9_8equal_toIvEEiEE10hipError_tPvRmT2_T3_T4_T5_mT6_T7_P12ihipStream_tbENKUlT_T0_E_clISt17integral_constantIbLb1EES14_IbLb0EEEEDaS10_S11_EUlS10_E_NS1_11comp_targetILNS1_3genE3ELNS1_11target_archE908ELNS1_3gpuE7ELNS1_3repE0EEENS1_30default_config_static_selectorELNS0_4arch9wavefront6targetE1EEEvT1_.has_dyn_sized_stack, 0
	.set _ZN7rocprim17ROCPRIM_400000_NS6detail17trampoline_kernelINS0_14default_configENS1_27scan_by_key_config_selectorImiEEZZNS1_16scan_by_key_implILNS1_25lookback_scan_determinismE0ELb0ES3_N6thrust23THRUST_200600_302600_NS18transform_iteratorI9row_indexNS9_17counting_iteratorImNS9_11use_defaultESD_SD_EESD_SD_EENS9_6detail15normal_iteratorINS9_10device_ptrIiEEEESK_iNS9_4plusIvEENS9_8equal_toIvEEiEE10hipError_tPvRmT2_T3_T4_T5_mT6_T7_P12ihipStream_tbENKUlT_T0_E_clISt17integral_constantIbLb1EES14_IbLb0EEEEDaS10_S11_EUlS10_E_NS1_11comp_targetILNS1_3genE3ELNS1_11target_archE908ELNS1_3gpuE7ELNS1_3repE0EEENS1_30default_config_static_selectorELNS0_4arch9wavefront6targetE1EEEvT1_.has_recursion, 0
	.set _ZN7rocprim17ROCPRIM_400000_NS6detail17trampoline_kernelINS0_14default_configENS1_27scan_by_key_config_selectorImiEEZZNS1_16scan_by_key_implILNS1_25lookback_scan_determinismE0ELb0ES3_N6thrust23THRUST_200600_302600_NS18transform_iteratorI9row_indexNS9_17counting_iteratorImNS9_11use_defaultESD_SD_EESD_SD_EENS9_6detail15normal_iteratorINS9_10device_ptrIiEEEESK_iNS9_4plusIvEENS9_8equal_toIvEEiEE10hipError_tPvRmT2_T3_T4_T5_mT6_T7_P12ihipStream_tbENKUlT_T0_E_clISt17integral_constantIbLb1EES14_IbLb0EEEEDaS10_S11_EUlS10_E_NS1_11comp_targetILNS1_3genE3ELNS1_11target_archE908ELNS1_3gpuE7ELNS1_3repE0EEENS1_30default_config_static_selectorELNS0_4arch9wavefront6targetE1EEEvT1_.has_indirect_call, 0
	.section	.AMDGPU.csdata,"",@progbits
; Kernel info:
; codeLenInByte = 0
; TotalNumSgprs: 4
; NumVgprs: 0
; ScratchSize: 0
; MemoryBound: 0
; FloatMode: 240
; IeeeMode: 1
; LDSByteSize: 0 bytes/workgroup (compile time only)
; SGPRBlocks: 0
; VGPRBlocks: 0
; NumSGPRsForWavesPerEU: 4
; NumVGPRsForWavesPerEU: 1
; Occupancy: 10
; WaveLimiterHint : 0
; COMPUTE_PGM_RSRC2:SCRATCH_EN: 0
; COMPUTE_PGM_RSRC2:USER_SGPR: 6
; COMPUTE_PGM_RSRC2:TRAP_HANDLER: 0
; COMPUTE_PGM_RSRC2:TGID_X_EN: 1
; COMPUTE_PGM_RSRC2:TGID_Y_EN: 0
; COMPUTE_PGM_RSRC2:TGID_Z_EN: 0
; COMPUTE_PGM_RSRC2:TIDIG_COMP_CNT: 0
	.section	.text._ZN7rocprim17ROCPRIM_400000_NS6detail17trampoline_kernelINS0_14default_configENS1_27scan_by_key_config_selectorImiEEZZNS1_16scan_by_key_implILNS1_25lookback_scan_determinismE0ELb0ES3_N6thrust23THRUST_200600_302600_NS18transform_iteratorI9row_indexNS9_17counting_iteratorImNS9_11use_defaultESD_SD_EESD_SD_EENS9_6detail15normal_iteratorINS9_10device_ptrIiEEEESK_iNS9_4plusIvEENS9_8equal_toIvEEiEE10hipError_tPvRmT2_T3_T4_T5_mT6_T7_P12ihipStream_tbENKUlT_T0_E_clISt17integral_constantIbLb1EES14_IbLb0EEEEDaS10_S11_EUlS10_E_NS1_11comp_targetILNS1_3genE2ELNS1_11target_archE906ELNS1_3gpuE6ELNS1_3repE0EEENS1_30default_config_static_selectorELNS0_4arch9wavefront6targetE1EEEvT1_,"axG",@progbits,_ZN7rocprim17ROCPRIM_400000_NS6detail17trampoline_kernelINS0_14default_configENS1_27scan_by_key_config_selectorImiEEZZNS1_16scan_by_key_implILNS1_25lookback_scan_determinismE0ELb0ES3_N6thrust23THRUST_200600_302600_NS18transform_iteratorI9row_indexNS9_17counting_iteratorImNS9_11use_defaultESD_SD_EESD_SD_EENS9_6detail15normal_iteratorINS9_10device_ptrIiEEEESK_iNS9_4plusIvEENS9_8equal_toIvEEiEE10hipError_tPvRmT2_T3_T4_T5_mT6_T7_P12ihipStream_tbENKUlT_T0_E_clISt17integral_constantIbLb1EES14_IbLb0EEEEDaS10_S11_EUlS10_E_NS1_11comp_targetILNS1_3genE2ELNS1_11target_archE906ELNS1_3gpuE6ELNS1_3repE0EEENS1_30default_config_static_selectorELNS0_4arch9wavefront6targetE1EEEvT1_,comdat
	.protected	_ZN7rocprim17ROCPRIM_400000_NS6detail17trampoline_kernelINS0_14default_configENS1_27scan_by_key_config_selectorImiEEZZNS1_16scan_by_key_implILNS1_25lookback_scan_determinismE0ELb0ES3_N6thrust23THRUST_200600_302600_NS18transform_iteratorI9row_indexNS9_17counting_iteratorImNS9_11use_defaultESD_SD_EESD_SD_EENS9_6detail15normal_iteratorINS9_10device_ptrIiEEEESK_iNS9_4plusIvEENS9_8equal_toIvEEiEE10hipError_tPvRmT2_T3_T4_T5_mT6_T7_P12ihipStream_tbENKUlT_T0_E_clISt17integral_constantIbLb1EES14_IbLb0EEEEDaS10_S11_EUlS10_E_NS1_11comp_targetILNS1_3genE2ELNS1_11target_archE906ELNS1_3gpuE6ELNS1_3repE0EEENS1_30default_config_static_selectorELNS0_4arch9wavefront6targetE1EEEvT1_ ; -- Begin function _ZN7rocprim17ROCPRIM_400000_NS6detail17trampoline_kernelINS0_14default_configENS1_27scan_by_key_config_selectorImiEEZZNS1_16scan_by_key_implILNS1_25lookback_scan_determinismE0ELb0ES3_N6thrust23THRUST_200600_302600_NS18transform_iteratorI9row_indexNS9_17counting_iteratorImNS9_11use_defaultESD_SD_EESD_SD_EENS9_6detail15normal_iteratorINS9_10device_ptrIiEEEESK_iNS9_4plusIvEENS9_8equal_toIvEEiEE10hipError_tPvRmT2_T3_T4_T5_mT6_T7_P12ihipStream_tbENKUlT_T0_E_clISt17integral_constantIbLb1EES14_IbLb0EEEEDaS10_S11_EUlS10_E_NS1_11comp_targetILNS1_3genE2ELNS1_11target_archE906ELNS1_3gpuE6ELNS1_3repE0EEENS1_30default_config_static_selectorELNS0_4arch9wavefront6targetE1EEEvT1_
	.globl	_ZN7rocprim17ROCPRIM_400000_NS6detail17trampoline_kernelINS0_14default_configENS1_27scan_by_key_config_selectorImiEEZZNS1_16scan_by_key_implILNS1_25lookback_scan_determinismE0ELb0ES3_N6thrust23THRUST_200600_302600_NS18transform_iteratorI9row_indexNS9_17counting_iteratorImNS9_11use_defaultESD_SD_EESD_SD_EENS9_6detail15normal_iteratorINS9_10device_ptrIiEEEESK_iNS9_4plusIvEENS9_8equal_toIvEEiEE10hipError_tPvRmT2_T3_T4_T5_mT6_T7_P12ihipStream_tbENKUlT_T0_E_clISt17integral_constantIbLb1EES14_IbLb0EEEEDaS10_S11_EUlS10_E_NS1_11comp_targetILNS1_3genE2ELNS1_11target_archE906ELNS1_3gpuE6ELNS1_3repE0EEENS1_30default_config_static_selectorELNS0_4arch9wavefront6targetE1EEEvT1_
	.p2align	8
	.type	_ZN7rocprim17ROCPRIM_400000_NS6detail17trampoline_kernelINS0_14default_configENS1_27scan_by_key_config_selectorImiEEZZNS1_16scan_by_key_implILNS1_25lookback_scan_determinismE0ELb0ES3_N6thrust23THRUST_200600_302600_NS18transform_iteratorI9row_indexNS9_17counting_iteratorImNS9_11use_defaultESD_SD_EESD_SD_EENS9_6detail15normal_iteratorINS9_10device_ptrIiEEEESK_iNS9_4plusIvEENS9_8equal_toIvEEiEE10hipError_tPvRmT2_T3_T4_T5_mT6_T7_P12ihipStream_tbENKUlT_T0_E_clISt17integral_constantIbLb1EES14_IbLb0EEEEDaS10_S11_EUlS10_E_NS1_11comp_targetILNS1_3genE2ELNS1_11target_archE906ELNS1_3gpuE6ELNS1_3repE0EEENS1_30default_config_static_selectorELNS0_4arch9wavefront6targetE1EEEvT1_,@function
_ZN7rocprim17ROCPRIM_400000_NS6detail17trampoline_kernelINS0_14default_configENS1_27scan_by_key_config_selectorImiEEZZNS1_16scan_by_key_implILNS1_25lookback_scan_determinismE0ELb0ES3_N6thrust23THRUST_200600_302600_NS18transform_iteratorI9row_indexNS9_17counting_iteratorImNS9_11use_defaultESD_SD_EESD_SD_EENS9_6detail15normal_iteratorINS9_10device_ptrIiEEEESK_iNS9_4plusIvEENS9_8equal_toIvEEiEE10hipError_tPvRmT2_T3_T4_T5_mT6_T7_P12ihipStream_tbENKUlT_T0_E_clISt17integral_constantIbLb1EES14_IbLb0EEEEDaS10_S11_EUlS10_E_NS1_11comp_targetILNS1_3genE2ELNS1_11target_archE906ELNS1_3gpuE6ELNS1_3repE0EEENS1_30default_config_static_selectorELNS0_4arch9wavefront6targetE1EEEvT1_: ; @_ZN7rocprim17ROCPRIM_400000_NS6detail17trampoline_kernelINS0_14default_configENS1_27scan_by_key_config_selectorImiEEZZNS1_16scan_by_key_implILNS1_25lookback_scan_determinismE0ELb0ES3_N6thrust23THRUST_200600_302600_NS18transform_iteratorI9row_indexNS9_17counting_iteratorImNS9_11use_defaultESD_SD_EESD_SD_EENS9_6detail15normal_iteratorINS9_10device_ptrIiEEEESK_iNS9_4plusIvEENS9_8equal_toIvEEiEE10hipError_tPvRmT2_T3_T4_T5_mT6_T7_P12ihipStream_tbENKUlT_T0_E_clISt17integral_constantIbLb1EES14_IbLb0EEEEDaS10_S11_EUlS10_E_NS1_11comp_targetILNS1_3genE2ELNS1_11target_archE906ELNS1_3gpuE6ELNS1_3repE0EEENS1_30default_config_static_selectorELNS0_4arch9wavefront6targetE1EEEvT1_
; %bb.0:
	s_endpgm
	.section	.rodata,"a",@progbits
	.p2align	6, 0x0
	.amdhsa_kernel _ZN7rocprim17ROCPRIM_400000_NS6detail17trampoline_kernelINS0_14default_configENS1_27scan_by_key_config_selectorImiEEZZNS1_16scan_by_key_implILNS1_25lookback_scan_determinismE0ELb0ES3_N6thrust23THRUST_200600_302600_NS18transform_iteratorI9row_indexNS9_17counting_iteratorImNS9_11use_defaultESD_SD_EESD_SD_EENS9_6detail15normal_iteratorINS9_10device_ptrIiEEEESK_iNS9_4plusIvEENS9_8equal_toIvEEiEE10hipError_tPvRmT2_T3_T4_T5_mT6_T7_P12ihipStream_tbENKUlT_T0_E_clISt17integral_constantIbLb1EES14_IbLb0EEEEDaS10_S11_EUlS10_E_NS1_11comp_targetILNS1_3genE2ELNS1_11target_archE906ELNS1_3gpuE6ELNS1_3repE0EEENS1_30default_config_static_selectorELNS0_4arch9wavefront6targetE1EEEvT1_
		.amdhsa_group_segment_fixed_size 0
		.amdhsa_private_segment_fixed_size 0
		.amdhsa_kernarg_size 120
		.amdhsa_user_sgpr_count 6
		.amdhsa_user_sgpr_private_segment_buffer 1
		.amdhsa_user_sgpr_dispatch_ptr 0
		.amdhsa_user_sgpr_queue_ptr 0
		.amdhsa_user_sgpr_kernarg_segment_ptr 1
		.amdhsa_user_sgpr_dispatch_id 0
		.amdhsa_user_sgpr_flat_scratch_init 0
		.amdhsa_user_sgpr_private_segment_size 0
		.amdhsa_uses_dynamic_stack 0
		.amdhsa_system_sgpr_private_segment_wavefront_offset 0
		.amdhsa_system_sgpr_workgroup_id_x 1
		.amdhsa_system_sgpr_workgroup_id_y 0
		.amdhsa_system_sgpr_workgroup_id_z 0
		.amdhsa_system_sgpr_workgroup_info 0
		.amdhsa_system_vgpr_workitem_id 0
		.amdhsa_next_free_vgpr 1
		.amdhsa_next_free_sgpr 0
		.amdhsa_reserve_vcc 0
		.amdhsa_reserve_flat_scratch 0
		.amdhsa_float_round_mode_32 0
		.amdhsa_float_round_mode_16_64 0
		.amdhsa_float_denorm_mode_32 3
		.amdhsa_float_denorm_mode_16_64 3
		.amdhsa_dx10_clamp 1
		.amdhsa_ieee_mode 1
		.amdhsa_fp16_overflow 0
		.amdhsa_exception_fp_ieee_invalid_op 0
		.amdhsa_exception_fp_denorm_src 0
		.amdhsa_exception_fp_ieee_div_zero 0
		.amdhsa_exception_fp_ieee_overflow 0
		.amdhsa_exception_fp_ieee_underflow 0
		.amdhsa_exception_fp_ieee_inexact 0
		.amdhsa_exception_int_div_zero 0
	.end_amdhsa_kernel
	.section	.text._ZN7rocprim17ROCPRIM_400000_NS6detail17trampoline_kernelINS0_14default_configENS1_27scan_by_key_config_selectorImiEEZZNS1_16scan_by_key_implILNS1_25lookback_scan_determinismE0ELb0ES3_N6thrust23THRUST_200600_302600_NS18transform_iteratorI9row_indexNS9_17counting_iteratorImNS9_11use_defaultESD_SD_EESD_SD_EENS9_6detail15normal_iteratorINS9_10device_ptrIiEEEESK_iNS9_4plusIvEENS9_8equal_toIvEEiEE10hipError_tPvRmT2_T3_T4_T5_mT6_T7_P12ihipStream_tbENKUlT_T0_E_clISt17integral_constantIbLb1EES14_IbLb0EEEEDaS10_S11_EUlS10_E_NS1_11comp_targetILNS1_3genE2ELNS1_11target_archE906ELNS1_3gpuE6ELNS1_3repE0EEENS1_30default_config_static_selectorELNS0_4arch9wavefront6targetE1EEEvT1_,"axG",@progbits,_ZN7rocprim17ROCPRIM_400000_NS6detail17trampoline_kernelINS0_14default_configENS1_27scan_by_key_config_selectorImiEEZZNS1_16scan_by_key_implILNS1_25lookback_scan_determinismE0ELb0ES3_N6thrust23THRUST_200600_302600_NS18transform_iteratorI9row_indexNS9_17counting_iteratorImNS9_11use_defaultESD_SD_EESD_SD_EENS9_6detail15normal_iteratorINS9_10device_ptrIiEEEESK_iNS9_4plusIvEENS9_8equal_toIvEEiEE10hipError_tPvRmT2_T3_T4_T5_mT6_T7_P12ihipStream_tbENKUlT_T0_E_clISt17integral_constantIbLb1EES14_IbLb0EEEEDaS10_S11_EUlS10_E_NS1_11comp_targetILNS1_3genE2ELNS1_11target_archE906ELNS1_3gpuE6ELNS1_3repE0EEENS1_30default_config_static_selectorELNS0_4arch9wavefront6targetE1EEEvT1_,comdat
.Lfunc_end30:
	.size	_ZN7rocprim17ROCPRIM_400000_NS6detail17trampoline_kernelINS0_14default_configENS1_27scan_by_key_config_selectorImiEEZZNS1_16scan_by_key_implILNS1_25lookback_scan_determinismE0ELb0ES3_N6thrust23THRUST_200600_302600_NS18transform_iteratorI9row_indexNS9_17counting_iteratorImNS9_11use_defaultESD_SD_EESD_SD_EENS9_6detail15normal_iteratorINS9_10device_ptrIiEEEESK_iNS9_4plusIvEENS9_8equal_toIvEEiEE10hipError_tPvRmT2_T3_T4_T5_mT6_T7_P12ihipStream_tbENKUlT_T0_E_clISt17integral_constantIbLb1EES14_IbLb0EEEEDaS10_S11_EUlS10_E_NS1_11comp_targetILNS1_3genE2ELNS1_11target_archE906ELNS1_3gpuE6ELNS1_3repE0EEENS1_30default_config_static_selectorELNS0_4arch9wavefront6targetE1EEEvT1_, .Lfunc_end30-_ZN7rocprim17ROCPRIM_400000_NS6detail17trampoline_kernelINS0_14default_configENS1_27scan_by_key_config_selectorImiEEZZNS1_16scan_by_key_implILNS1_25lookback_scan_determinismE0ELb0ES3_N6thrust23THRUST_200600_302600_NS18transform_iteratorI9row_indexNS9_17counting_iteratorImNS9_11use_defaultESD_SD_EESD_SD_EENS9_6detail15normal_iteratorINS9_10device_ptrIiEEEESK_iNS9_4plusIvEENS9_8equal_toIvEEiEE10hipError_tPvRmT2_T3_T4_T5_mT6_T7_P12ihipStream_tbENKUlT_T0_E_clISt17integral_constantIbLb1EES14_IbLb0EEEEDaS10_S11_EUlS10_E_NS1_11comp_targetILNS1_3genE2ELNS1_11target_archE906ELNS1_3gpuE6ELNS1_3repE0EEENS1_30default_config_static_selectorELNS0_4arch9wavefront6targetE1EEEvT1_
                                        ; -- End function
	.set _ZN7rocprim17ROCPRIM_400000_NS6detail17trampoline_kernelINS0_14default_configENS1_27scan_by_key_config_selectorImiEEZZNS1_16scan_by_key_implILNS1_25lookback_scan_determinismE0ELb0ES3_N6thrust23THRUST_200600_302600_NS18transform_iteratorI9row_indexNS9_17counting_iteratorImNS9_11use_defaultESD_SD_EESD_SD_EENS9_6detail15normal_iteratorINS9_10device_ptrIiEEEESK_iNS9_4plusIvEENS9_8equal_toIvEEiEE10hipError_tPvRmT2_T3_T4_T5_mT6_T7_P12ihipStream_tbENKUlT_T0_E_clISt17integral_constantIbLb1EES14_IbLb0EEEEDaS10_S11_EUlS10_E_NS1_11comp_targetILNS1_3genE2ELNS1_11target_archE906ELNS1_3gpuE6ELNS1_3repE0EEENS1_30default_config_static_selectorELNS0_4arch9wavefront6targetE1EEEvT1_.num_vgpr, 0
	.set _ZN7rocprim17ROCPRIM_400000_NS6detail17trampoline_kernelINS0_14default_configENS1_27scan_by_key_config_selectorImiEEZZNS1_16scan_by_key_implILNS1_25lookback_scan_determinismE0ELb0ES3_N6thrust23THRUST_200600_302600_NS18transform_iteratorI9row_indexNS9_17counting_iteratorImNS9_11use_defaultESD_SD_EESD_SD_EENS9_6detail15normal_iteratorINS9_10device_ptrIiEEEESK_iNS9_4plusIvEENS9_8equal_toIvEEiEE10hipError_tPvRmT2_T3_T4_T5_mT6_T7_P12ihipStream_tbENKUlT_T0_E_clISt17integral_constantIbLb1EES14_IbLb0EEEEDaS10_S11_EUlS10_E_NS1_11comp_targetILNS1_3genE2ELNS1_11target_archE906ELNS1_3gpuE6ELNS1_3repE0EEENS1_30default_config_static_selectorELNS0_4arch9wavefront6targetE1EEEvT1_.num_agpr, 0
	.set _ZN7rocprim17ROCPRIM_400000_NS6detail17trampoline_kernelINS0_14default_configENS1_27scan_by_key_config_selectorImiEEZZNS1_16scan_by_key_implILNS1_25lookback_scan_determinismE0ELb0ES3_N6thrust23THRUST_200600_302600_NS18transform_iteratorI9row_indexNS9_17counting_iteratorImNS9_11use_defaultESD_SD_EESD_SD_EENS9_6detail15normal_iteratorINS9_10device_ptrIiEEEESK_iNS9_4plusIvEENS9_8equal_toIvEEiEE10hipError_tPvRmT2_T3_T4_T5_mT6_T7_P12ihipStream_tbENKUlT_T0_E_clISt17integral_constantIbLb1EES14_IbLb0EEEEDaS10_S11_EUlS10_E_NS1_11comp_targetILNS1_3genE2ELNS1_11target_archE906ELNS1_3gpuE6ELNS1_3repE0EEENS1_30default_config_static_selectorELNS0_4arch9wavefront6targetE1EEEvT1_.numbered_sgpr, 0
	.set _ZN7rocprim17ROCPRIM_400000_NS6detail17trampoline_kernelINS0_14default_configENS1_27scan_by_key_config_selectorImiEEZZNS1_16scan_by_key_implILNS1_25lookback_scan_determinismE0ELb0ES3_N6thrust23THRUST_200600_302600_NS18transform_iteratorI9row_indexNS9_17counting_iteratorImNS9_11use_defaultESD_SD_EESD_SD_EENS9_6detail15normal_iteratorINS9_10device_ptrIiEEEESK_iNS9_4plusIvEENS9_8equal_toIvEEiEE10hipError_tPvRmT2_T3_T4_T5_mT6_T7_P12ihipStream_tbENKUlT_T0_E_clISt17integral_constantIbLb1EES14_IbLb0EEEEDaS10_S11_EUlS10_E_NS1_11comp_targetILNS1_3genE2ELNS1_11target_archE906ELNS1_3gpuE6ELNS1_3repE0EEENS1_30default_config_static_selectorELNS0_4arch9wavefront6targetE1EEEvT1_.num_named_barrier, 0
	.set _ZN7rocprim17ROCPRIM_400000_NS6detail17trampoline_kernelINS0_14default_configENS1_27scan_by_key_config_selectorImiEEZZNS1_16scan_by_key_implILNS1_25lookback_scan_determinismE0ELb0ES3_N6thrust23THRUST_200600_302600_NS18transform_iteratorI9row_indexNS9_17counting_iteratorImNS9_11use_defaultESD_SD_EESD_SD_EENS9_6detail15normal_iteratorINS9_10device_ptrIiEEEESK_iNS9_4plusIvEENS9_8equal_toIvEEiEE10hipError_tPvRmT2_T3_T4_T5_mT6_T7_P12ihipStream_tbENKUlT_T0_E_clISt17integral_constantIbLb1EES14_IbLb0EEEEDaS10_S11_EUlS10_E_NS1_11comp_targetILNS1_3genE2ELNS1_11target_archE906ELNS1_3gpuE6ELNS1_3repE0EEENS1_30default_config_static_selectorELNS0_4arch9wavefront6targetE1EEEvT1_.private_seg_size, 0
	.set _ZN7rocprim17ROCPRIM_400000_NS6detail17trampoline_kernelINS0_14default_configENS1_27scan_by_key_config_selectorImiEEZZNS1_16scan_by_key_implILNS1_25lookback_scan_determinismE0ELb0ES3_N6thrust23THRUST_200600_302600_NS18transform_iteratorI9row_indexNS9_17counting_iteratorImNS9_11use_defaultESD_SD_EESD_SD_EENS9_6detail15normal_iteratorINS9_10device_ptrIiEEEESK_iNS9_4plusIvEENS9_8equal_toIvEEiEE10hipError_tPvRmT2_T3_T4_T5_mT6_T7_P12ihipStream_tbENKUlT_T0_E_clISt17integral_constantIbLb1EES14_IbLb0EEEEDaS10_S11_EUlS10_E_NS1_11comp_targetILNS1_3genE2ELNS1_11target_archE906ELNS1_3gpuE6ELNS1_3repE0EEENS1_30default_config_static_selectorELNS0_4arch9wavefront6targetE1EEEvT1_.uses_vcc, 0
	.set _ZN7rocprim17ROCPRIM_400000_NS6detail17trampoline_kernelINS0_14default_configENS1_27scan_by_key_config_selectorImiEEZZNS1_16scan_by_key_implILNS1_25lookback_scan_determinismE0ELb0ES3_N6thrust23THRUST_200600_302600_NS18transform_iteratorI9row_indexNS9_17counting_iteratorImNS9_11use_defaultESD_SD_EESD_SD_EENS9_6detail15normal_iteratorINS9_10device_ptrIiEEEESK_iNS9_4plusIvEENS9_8equal_toIvEEiEE10hipError_tPvRmT2_T3_T4_T5_mT6_T7_P12ihipStream_tbENKUlT_T0_E_clISt17integral_constantIbLb1EES14_IbLb0EEEEDaS10_S11_EUlS10_E_NS1_11comp_targetILNS1_3genE2ELNS1_11target_archE906ELNS1_3gpuE6ELNS1_3repE0EEENS1_30default_config_static_selectorELNS0_4arch9wavefront6targetE1EEEvT1_.uses_flat_scratch, 0
	.set _ZN7rocprim17ROCPRIM_400000_NS6detail17trampoline_kernelINS0_14default_configENS1_27scan_by_key_config_selectorImiEEZZNS1_16scan_by_key_implILNS1_25lookback_scan_determinismE0ELb0ES3_N6thrust23THRUST_200600_302600_NS18transform_iteratorI9row_indexNS9_17counting_iteratorImNS9_11use_defaultESD_SD_EESD_SD_EENS9_6detail15normal_iteratorINS9_10device_ptrIiEEEESK_iNS9_4plusIvEENS9_8equal_toIvEEiEE10hipError_tPvRmT2_T3_T4_T5_mT6_T7_P12ihipStream_tbENKUlT_T0_E_clISt17integral_constantIbLb1EES14_IbLb0EEEEDaS10_S11_EUlS10_E_NS1_11comp_targetILNS1_3genE2ELNS1_11target_archE906ELNS1_3gpuE6ELNS1_3repE0EEENS1_30default_config_static_selectorELNS0_4arch9wavefront6targetE1EEEvT1_.has_dyn_sized_stack, 0
	.set _ZN7rocprim17ROCPRIM_400000_NS6detail17trampoline_kernelINS0_14default_configENS1_27scan_by_key_config_selectorImiEEZZNS1_16scan_by_key_implILNS1_25lookback_scan_determinismE0ELb0ES3_N6thrust23THRUST_200600_302600_NS18transform_iteratorI9row_indexNS9_17counting_iteratorImNS9_11use_defaultESD_SD_EESD_SD_EENS9_6detail15normal_iteratorINS9_10device_ptrIiEEEESK_iNS9_4plusIvEENS9_8equal_toIvEEiEE10hipError_tPvRmT2_T3_T4_T5_mT6_T7_P12ihipStream_tbENKUlT_T0_E_clISt17integral_constantIbLb1EES14_IbLb0EEEEDaS10_S11_EUlS10_E_NS1_11comp_targetILNS1_3genE2ELNS1_11target_archE906ELNS1_3gpuE6ELNS1_3repE0EEENS1_30default_config_static_selectorELNS0_4arch9wavefront6targetE1EEEvT1_.has_recursion, 0
	.set _ZN7rocprim17ROCPRIM_400000_NS6detail17trampoline_kernelINS0_14default_configENS1_27scan_by_key_config_selectorImiEEZZNS1_16scan_by_key_implILNS1_25lookback_scan_determinismE0ELb0ES3_N6thrust23THRUST_200600_302600_NS18transform_iteratorI9row_indexNS9_17counting_iteratorImNS9_11use_defaultESD_SD_EESD_SD_EENS9_6detail15normal_iteratorINS9_10device_ptrIiEEEESK_iNS9_4plusIvEENS9_8equal_toIvEEiEE10hipError_tPvRmT2_T3_T4_T5_mT6_T7_P12ihipStream_tbENKUlT_T0_E_clISt17integral_constantIbLb1EES14_IbLb0EEEEDaS10_S11_EUlS10_E_NS1_11comp_targetILNS1_3genE2ELNS1_11target_archE906ELNS1_3gpuE6ELNS1_3repE0EEENS1_30default_config_static_selectorELNS0_4arch9wavefront6targetE1EEEvT1_.has_indirect_call, 0
	.section	.AMDGPU.csdata,"",@progbits
; Kernel info:
; codeLenInByte = 4
; TotalNumSgprs: 4
; NumVgprs: 0
; ScratchSize: 0
; MemoryBound: 0
; FloatMode: 240
; IeeeMode: 1
; LDSByteSize: 0 bytes/workgroup (compile time only)
; SGPRBlocks: 0
; VGPRBlocks: 0
; NumSGPRsForWavesPerEU: 4
; NumVGPRsForWavesPerEU: 1
; Occupancy: 10
; WaveLimiterHint : 0
; COMPUTE_PGM_RSRC2:SCRATCH_EN: 0
; COMPUTE_PGM_RSRC2:USER_SGPR: 6
; COMPUTE_PGM_RSRC2:TRAP_HANDLER: 0
; COMPUTE_PGM_RSRC2:TGID_X_EN: 1
; COMPUTE_PGM_RSRC2:TGID_Y_EN: 0
; COMPUTE_PGM_RSRC2:TGID_Z_EN: 0
; COMPUTE_PGM_RSRC2:TIDIG_COMP_CNT: 0
	.section	.text._ZN7rocprim17ROCPRIM_400000_NS6detail17trampoline_kernelINS0_14default_configENS1_27scan_by_key_config_selectorImiEEZZNS1_16scan_by_key_implILNS1_25lookback_scan_determinismE0ELb0ES3_N6thrust23THRUST_200600_302600_NS18transform_iteratorI9row_indexNS9_17counting_iteratorImNS9_11use_defaultESD_SD_EESD_SD_EENS9_6detail15normal_iteratorINS9_10device_ptrIiEEEESK_iNS9_4plusIvEENS9_8equal_toIvEEiEE10hipError_tPvRmT2_T3_T4_T5_mT6_T7_P12ihipStream_tbENKUlT_T0_E_clISt17integral_constantIbLb1EES14_IbLb0EEEEDaS10_S11_EUlS10_E_NS1_11comp_targetILNS1_3genE10ELNS1_11target_archE1200ELNS1_3gpuE4ELNS1_3repE0EEENS1_30default_config_static_selectorELNS0_4arch9wavefront6targetE1EEEvT1_,"axG",@progbits,_ZN7rocprim17ROCPRIM_400000_NS6detail17trampoline_kernelINS0_14default_configENS1_27scan_by_key_config_selectorImiEEZZNS1_16scan_by_key_implILNS1_25lookback_scan_determinismE0ELb0ES3_N6thrust23THRUST_200600_302600_NS18transform_iteratorI9row_indexNS9_17counting_iteratorImNS9_11use_defaultESD_SD_EESD_SD_EENS9_6detail15normal_iteratorINS9_10device_ptrIiEEEESK_iNS9_4plusIvEENS9_8equal_toIvEEiEE10hipError_tPvRmT2_T3_T4_T5_mT6_T7_P12ihipStream_tbENKUlT_T0_E_clISt17integral_constantIbLb1EES14_IbLb0EEEEDaS10_S11_EUlS10_E_NS1_11comp_targetILNS1_3genE10ELNS1_11target_archE1200ELNS1_3gpuE4ELNS1_3repE0EEENS1_30default_config_static_selectorELNS0_4arch9wavefront6targetE1EEEvT1_,comdat
	.protected	_ZN7rocprim17ROCPRIM_400000_NS6detail17trampoline_kernelINS0_14default_configENS1_27scan_by_key_config_selectorImiEEZZNS1_16scan_by_key_implILNS1_25lookback_scan_determinismE0ELb0ES3_N6thrust23THRUST_200600_302600_NS18transform_iteratorI9row_indexNS9_17counting_iteratorImNS9_11use_defaultESD_SD_EESD_SD_EENS9_6detail15normal_iteratorINS9_10device_ptrIiEEEESK_iNS9_4plusIvEENS9_8equal_toIvEEiEE10hipError_tPvRmT2_T3_T4_T5_mT6_T7_P12ihipStream_tbENKUlT_T0_E_clISt17integral_constantIbLb1EES14_IbLb0EEEEDaS10_S11_EUlS10_E_NS1_11comp_targetILNS1_3genE10ELNS1_11target_archE1200ELNS1_3gpuE4ELNS1_3repE0EEENS1_30default_config_static_selectorELNS0_4arch9wavefront6targetE1EEEvT1_ ; -- Begin function _ZN7rocprim17ROCPRIM_400000_NS6detail17trampoline_kernelINS0_14default_configENS1_27scan_by_key_config_selectorImiEEZZNS1_16scan_by_key_implILNS1_25lookback_scan_determinismE0ELb0ES3_N6thrust23THRUST_200600_302600_NS18transform_iteratorI9row_indexNS9_17counting_iteratorImNS9_11use_defaultESD_SD_EESD_SD_EENS9_6detail15normal_iteratorINS9_10device_ptrIiEEEESK_iNS9_4plusIvEENS9_8equal_toIvEEiEE10hipError_tPvRmT2_T3_T4_T5_mT6_T7_P12ihipStream_tbENKUlT_T0_E_clISt17integral_constantIbLb1EES14_IbLb0EEEEDaS10_S11_EUlS10_E_NS1_11comp_targetILNS1_3genE10ELNS1_11target_archE1200ELNS1_3gpuE4ELNS1_3repE0EEENS1_30default_config_static_selectorELNS0_4arch9wavefront6targetE1EEEvT1_
	.globl	_ZN7rocprim17ROCPRIM_400000_NS6detail17trampoline_kernelINS0_14default_configENS1_27scan_by_key_config_selectorImiEEZZNS1_16scan_by_key_implILNS1_25lookback_scan_determinismE0ELb0ES3_N6thrust23THRUST_200600_302600_NS18transform_iteratorI9row_indexNS9_17counting_iteratorImNS9_11use_defaultESD_SD_EESD_SD_EENS9_6detail15normal_iteratorINS9_10device_ptrIiEEEESK_iNS9_4plusIvEENS9_8equal_toIvEEiEE10hipError_tPvRmT2_T3_T4_T5_mT6_T7_P12ihipStream_tbENKUlT_T0_E_clISt17integral_constantIbLb1EES14_IbLb0EEEEDaS10_S11_EUlS10_E_NS1_11comp_targetILNS1_3genE10ELNS1_11target_archE1200ELNS1_3gpuE4ELNS1_3repE0EEENS1_30default_config_static_selectorELNS0_4arch9wavefront6targetE1EEEvT1_
	.p2align	8
	.type	_ZN7rocprim17ROCPRIM_400000_NS6detail17trampoline_kernelINS0_14default_configENS1_27scan_by_key_config_selectorImiEEZZNS1_16scan_by_key_implILNS1_25lookback_scan_determinismE0ELb0ES3_N6thrust23THRUST_200600_302600_NS18transform_iteratorI9row_indexNS9_17counting_iteratorImNS9_11use_defaultESD_SD_EESD_SD_EENS9_6detail15normal_iteratorINS9_10device_ptrIiEEEESK_iNS9_4plusIvEENS9_8equal_toIvEEiEE10hipError_tPvRmT2_T3_T4_T5_mT6_T7_P12ihipStream_tbENKUlT_T0_E_clISt17integral_constantIbLb1EES14_IbLb0EEEEDaS10_S11_EUlS10_E_NS1_11comp_targetILNS1_3genE10ELNS1_11target_archE1200ELNS1_3gpuE4ELNS1_3repE0EEENS1_30default_config_static_selectorELNS0_4arch9wavefront6targetE1EEEvT1_,@function
_ZN7rocprim17ROCPRIM_400000_NS6detail17trampoline_kernelINS0_14default_configENS1_27scan_by_key_config_selectorImiEEZZNS1_16scan_by_key_implILNS1_25lookback_scan_determinismE0ELb0ES3_N6thrust23THRUST_200600_302600_NS18transform_iteratorI9row_indexNS9_17counting_iteratorImNS9_11use_defaultESD_SD_EESD_SD_EENS9_6detail15normal_iteratorINS9_10device_ptrIiEEEESK_iNS9_4plusIvEENS9_8equal_toIvEEiEE10hipError_tPvRmT2_T3_T4_T5_mT6_T7_P12ihipStream_tbENKUlT_T0_E_clISt17integral_constantIbLb1EES14_IbLb0EEEEDaS10_S11_EUlS10_E_NS1_11comp_targetILNS1_3genE10ELNS1_11target_archE1200ELNS1_3gpuE4ELNS1_3repE0EEENS1_30default_config_static_selectorELNS0_4arch9wavefront6targetE1EEEvT1_: ; @_ZN7rocprim17ROCPRIM_400000_NS6detail17trampoline_kernelINS0_14default_configENS1_27scan_by_key_config_selectorImiEEZZNS1_16scan_by_key_implILNS1_25lookback_scan_determinismE0ELb0ES3_N6thrust23THRUST_200600_302600_NS18transform_iteratorI9row_indexNS9_17counting_iteratorImNS9_11use_defaultESD_SD_EESD_SD_EENS9_6detail15normal_iteratorINS9_10device_ptrIiEEEESK_iNS9_4plusIvEENS9_8equal_toIvEEiEE10hipError_tPvRmT2_T3_T4_T5_mT6_T7_P12ihipStream_tbENKUlT_T0_E_clISt17integral_constantIbLb1EES14_IbLb0EEEEDaS10_S11_EUlS10_E_NS1_11comp_targetILNS1_3genE10ELNS1_11target_archE1200ELNS1_3gpuE4ELNS1_3repE0EEENS1_30default_config_static_selectorELNS0_4arch9wavefront6targetE1EEEvT1_
; %bb.0:
	.section	.rodata,"a",@progbits
	.p2align	6, 0x0
	.amdhsa_kernel _ZN7rocprim17ROCPRIM_400000_NS6detail17trampoline_kernelINS0_14default_configENS1_27scan_by_key_config_selectorImiEEZZNS1_16scan_by_key_implILNS1_25lookback_scan_determinismE0ELb0ES3_N6thrust23THRUST_200600_302600_NS18transform_iteratorI9row_indexNS9_17counting_iteratorImNS9_11use_defaultESD_SD_EESD_SD_EENS9_6detail15normal_iteratorINS9_10device_ptrIiEEEESK_iNS9_4plusIvEENS9_8equal_toIvEEiEE10hipError_tPvRmT2_T3_T4_T5_mT6_T7_P12ihipStream_tbENKUlT_T0_E_clISt17integral_constantIbLb1EES14_IbLb0EEEEDaS10_S11_EUlS10_E_NS1_11comp_targetILNS1_3genE10ELNS1_11target_archE1200ELNS1_3gpuE4ELNS1_3repE0EEENS1_30default_config_static_selectorELNS0_4arch9wavefront6targetE1EEEvT1_
		.amdhsa_group_segment_fixed_size 0
		.amdhsa_private_segment_fixed_size 0
		.amdhsa_kernarg_size 120
		.amdhsa_user_sgpr_count 6
		.amdhsa_user_sgpr_private_segment_buffer 1
		.amdhsa_user_sgpr_dispatch_ptr 0
		.amdhsa_user_sgpr_queue_ptr 0
		.amdhsa_user_sgpr_kernarg_segment_ptr 1
		.amdhsa_user_sgpr_dispatch_id 0
		.amdhsa_user_sgpr_flat_scratch_init 0
		.amdhsa_user_sgpr_private_segment_size 0
		.amdhsa_uses_dynamic_stack 0
		.amdhsa_system_sgpr_private_segment_wavefront_offset 0
		.amdhsa_system_sgpr_workgroup_id_x 1
		.amdhsa_system_sgpr_workgroup_id_y 0
		.amdhsa_system_sgpr_workgroup_id_z 0
		.amdhsa_system_sgpr_workgroup_info 0
		.amdhsa_system_vgpr_workitem_id 0
		.amdhsa_next_free_vgpr 1
		.amdhsa_next_free_sgpr 0
		.amdhsa_reserve_vcc 0
		.amdhsa_reserve_flat_scratch 0
		.amdhsa_float_round_mode_32 0
		.amdhsa_float_round_mode_16_64 0
		.amdhsa_float_denorm_mode_32 3
		.amdhsa_float_denorm_mode_16_64 3
		.amdhsa_dx10_clamp 1
		.amdhsa_ieee_mode 1
		.amdhsa_fp16_overflow 0
		.amdhsa_exception_fp_ieee_invalid_op 0
		.amdhsa_exception_fp_denorm_src 0
		.amdhsa_exception_fp_ieee_div_zero 0
		.amdhsa_exception_fp_ieee_overflow 0
		.amdhsa_exception_fp_ieee_underflow 0
		.amdhsa_exception_fp_ieee_inexact 0
		.amdhsa_exception_int_div_zero 0
	.end_amdhsa_kernel
	.section	.text._ZN7rocprim17ROCPRIM_400000_NS6detail17trampoline_kernelINS0_14default_configENS1_27scan_by_key_config_selectorImiEEZZNS1_16scan_by_key_implILNS1_25lookback_scan_determinismE0ELb0ES3_N6thrust23THRUST_200600_302600_NS18transform_iteratorI9row_indexNS9_17counting_iteratorImNS9_11use_defaultESD_SD_EESD_SD_EENS9_6detail15normal_iteratorINS9_10device_ptrIiEEEESK_iNS9_4plusIvEENS9_8equal_toIvEEiEE10hipError_tPvRmT2_T3_T4_T5_mT6_T7_P12ihipStream_tbENKUlT_T0_E_clISt17integral_constantIbLb1EES14_IbLb0EEEEDaS10_S11_EUlS10_E_NS1_11comp_targetILNS1_3genE10ELNS1_11target_archE1200ELNS1_3gpuE4ELNS1_3repE0EEENS1_30default_config_static_selectorELNS0_4arch9wavefront6targetE1EEEvT1_,"axG",@progbits,_ZN7rocprim17ROCPRIM_400000_NS6detail17trampoline_kernelINS0_14default_configENS1_27scan_by_key_config_selectorImiEEZZNS1_16scan_by_key_implILNS1_25lookback_scan_determinismE0ELb0ES3_N6thrust23THRUST_200600_302600_NS18transform_iteratorI9row_indexNS9_17counting_iteratorImNS9_11use_defaultESD_SD_EESD_SD_EENS9_6detail15normal_iteratorINS9_10device_ptrIiEEEESK_iNS9_4plusIvEENS9_8equal_toIvEEiEE10hipError_tPvRmT2_T3_T4_T5_mT6_T7_P12ihipStream_tbENKUlT_T0_E_clISt17integral_constantIbLb1EES14_IbLb0EEEEDaS10_S11_EUlS10_E_NS1_11comp_targetILNS1_3genE10ELNS1_11target_archE1200ELNS1_3gpuE4ELNS1_3repE0EEENS1_30default_config_static_selectorELNS0_4arch9wavefront6targetE1EEEvT1_,comdat
.Lfunc_end31:
	.size	_ZN7rocprim17ROCPRIM_400000_NS6detail17trampoline_kernelINS0_14default_configENS1_27scan_by_key_config_selectorImiEEZZNS1_16scan_by_key_implILNS1_25lookback_scan_determinismE0ELb0ES3_N6thrust23THRUST_200600_302600_NS18transform_iteratorI9row_indexNS9_17counting_iteratorImNS9_11use_defaultESD_SD_EESD_SD_EENS9_6detail15normal_iteratorINS9_10device_ptrIiEEEESK_iNS9_4plusIvEENS9_8equal_toIvEEiEE10hipError_tPvRmT2_T3_T4_T5_mT6_T7_P12ihipStream_tbENKUlT_T0_E_clISt17integral_constantIbLb1EES14_IbLb0EEEEDaS10_S11_EUlS10_E_NS1_11comp_targetILNS1_3genE10ELNS1_11target_archE1200ELNS1_3gpuE4ELNS1_3repE0EEENS1_30default_config_static_selectorELNS0_4arch9wavefront6targetE1EEEvT1_, .Lfunc_end31-_ZN7rocprim17ROCPRIM_400000_NS6detail17trampoline_kernelINS0_14default_configENS1_27scan_by_key_config_selectorImiEEZZNS1_16scan_by_key_implILNS1_25lookback_scan_determinismE0ELb0ES3_N6thrust23THRUST_200600_302600_NS18transform_iteratorI9row_indexNS9_17counting_iteratorImNS9_11use_defaultESD_SD_EESD_SD_EENS9_6detail15normal_iteratorINS9_10device_ptrIiEEEESK_iNS9_4plusIvEENS9_8equal_toIvEEiEE10hipError_tPvRmT2_T3_T4_T5_mT6_T7_P12ihipStream_tbENKUlT_T0_E_clISt17integral_constantIbLb1EES14_IbLb0EEEEDaS10_S11_EUlS10_E_NS1_11comp_targetILNS1_3genE10ELNS1_11target_archE1200ELNS1_3gpuE4ELNS1_3repE0EEENS1_30default_config_static_selectorELNS0_4arch9wavefront6targetE1EEEvT1_
                                        ; -- End function
	.set _ZN7rocprim17ROCPRIM_400000_NS6detail17trampoline_kernelINS0_14default_configENS1_27scan_by_key_config_selectorImiEEZZNS1_16scan_by_key_implILNS1_25lookback_scan_determinismE0ELb0ES3_N6thrust23THRUST_200600_302600_NS18transform_iteratorI9row_indexNS9_17counting_iteratorImNS9_11use_defaultESD_SD_EESD_SD_EENS9_6detail15normal_iteratorINS9_10device_ptrIiEEEESK_iNS9_4plusIvEENS9_8equal_toIvEEiEE10hipError_tPvRmT2_T3_T4_T5_mT6_T7_P12ihipStream_tbENKUlT_T0_E_clISt17integral_constantIbLb1EES14_IbLb0EEEEDaS10_S11_EUlS10_E_NS1_11comp_targetILNS1_3genE10ELNS1_11target_archE1200ELNS1_3gpuE4ELNS1_3repE0EEENS1_30default_config_static_selectorELNS0_4arch9wavefront6targetE1EEEvT1_.num_vgpr, 0
	.set _ZN7rocprim17ROCPRIM_400000_NS6detail17trampoline_kernelINS0_14default_configENS1_27scan_by_key_config_selectorImiEEZZNS1_16scan_by_key_implILNS1_25lookback_scan_determinismE0ELb0ES3_N6thrust23THRUST_200600_302600_NS18transform_iteratorI9row_indexNS9_17counting_iteratorImNS9_11use_defaultESD_SD_EESD_SD_EENS9_6detail15normal_iteratorINS9_10device_ptrIiEEEESK_iNS9_4plusIvEENS9_8equal_toIvEEiEE10hipError_tPvRmT2_T3_T4_T5_mT6_T7_P12ihipStream_tbENKUlT_T0_E_clISt17integral_constantIbLb1EES14_IbLb0EEEEDaS10_S11_EUlS10_E_NS1_11comp_targetILNS1_3genE10ELNS1_11target_archE1200ELNS1_3gpuE4ELNS1_3repE0EEENS1_30default_config_static_selectorELNS0_4arch9wavefront6targetE1EEEvT1_.num_agpr, 0
	.set _ZN7rocprim17ROCPRIM_400000_NS6detail17trampoline_kernelINS0_14default_configENS1_27scan_by_key_config_selectorImiEEZZNS1_16scan_by_key_implILNS1_25lookback_scan_determinismE0ELb0ES3_N6thrust23THRUST_200600_302600_NS18transform_iteratorI9row_indexNS9_17counting_iteratorImNS9_11use_defaultESD_SD_EESD_SD_EENS9_6detail15normal_iteratorINS9_10device_ptrIiEEEESK_iNS9_4plusIvEENS9_8equal_toIvEEiEE10hipError_tPvRmT2_T3_T4_T5_mT6_T7_P12ihipStream_tbENKUlT_T0_E_clISt17integral_constantIbLb1EES14_IbLb0EEEEDaS10_S11_EUlS10_E_NS1_11comp_targetILNS1_3genE10ELNS1_11target_archE1200ELNS1_3gpuE4ELNS1_3repE0EEENS1_30default_config_static_selectorELNS0_4arch9wavefront6targetE1EEEvT1_.numbered_sgpr, 0
	.set _ZN7rocprim17ROCPRIM_400000_NS6detail17trampoline_kernelINS0_14default_configENS1_27scan_by_key_config_selectorImiEEZZNS1_16scan_by_key_implILNS1_25lookback_scan_determinismE0ELb0ES3_N6thrust23THRUST_200600_302600_NS18transform_iteratorI9row_indexNS9_17counting_iteratorImNS9_11use_defaultESD_SD_EESD_SD_EENS9_6detail15normal_iteratorINS9_10device_ptrIiEEEESK_iNS9_4plusIvEENS9_8equal_toIvEEiEE10hipError_tPvRmT2_T3_T4_T5_mT6_T7_P12ihipStream_tbENKUlT_T0_E_clISt17integral_constantIbLb1EES14_IbLb0EEEEDaS10_S11_EUlS10_E_NS1_11comp_targetILNS1_3genE10ELNS1_11target_archE1200ELNS1_3gpuE4ELNS1_3repE0EEENS1_30default_config_static_selectorELNS0_4arch9wavefront6targetE1EEEvT1_.num_named_barrier, 0
	.set _ZN7rocprim17ROCPRIM_400000_NS6detail17trampoline_kernelINS0_14default_configENS1_27scan_by_key_config_selectorImiEEZZNS1_16scan_by_key_implILNS1_25lookback_scan_determinismE0ELb0ES3_N6thrust23THRUST_200600_302600_NS18transform_iteratorI9row_indexNS9_17counting_iteratorImNS9_11use_defaultESD_SD_EESD_SD_EENS9_6detail15normal_iteratorINS9_10device_ptrIiEEEESK_iNS9_4plusIvEENS9_8equal_toIvEEiEE10hipError_tPvRmT2_T3_T4_T5_mT6_T7_P12ihipStream_tbENKUlT_T0_E_clISt17integral_constantIbLb1EES14_IbLb0EEEEDaS10_S11_EUlS10_E_NS1_11comp_targetILNS1_3genE10ELNS1_11target_archE1200ELNS1_3gpuE4ELNS1_3repE0EEENS1_30default_config_static_selectorELNS0_4arch9wavefront6targetE1EEEvT1_.private_seg_size, 0
	.set _ZN7rocprim17ROCPRIM_400000_NS6detail17trampoline_kernelINS0_14default_configENS1_27scan_by_key_config_selectorImiEEZZNS1_16scan_by_key_implILNS1_25lookback_scan_determinismE0ELb0ES3_N6thrust23THRUST_200600_302600_NS18transform_iteratorI9row_indexNS9_17counting_iteratorImNS9_11use_defaultESD_SD_EESD_SD_EENS9_6detail15normal_iteratorINS9_10device_ptrIiEEEESK_iNS9_4plusIvEENS9_8equal_toIvEEiEE10hipError_tPvRmT2_T3_T4_T5_mT6_T7_P12ihipStream_tbENKUlT_T0_E_clISt17integral_constantIbLb1EES14_IbLb0EEEEDaS10_S11_EUlS10_E_NS1_11comp_targetILNS1_3genE10ELNS1_11target_archE1200ELNS1_3gpuE4ELNS1_3repE0EEENS1_30default_config_static_selectorELNS0_4arch9wavefront6targetE1EEEvT1_.uses_vcc, 0
	.set _ZN7rocprim17ROCPRIM_400000_NS6detail17trampoline_kernelINS0_14default_configENS1_27scan_by_key_config_selectorImiEEZZNS1_16scan_by_key_implILNS1_25lookback_scan_determinismE0ELb0ES3_N6thrust23THRUST_200600_302600_NS18transform_iteratorI9row_indexNS9_17counting_iteratorImNS9_11use_defaultESD_SD_EESD_SD_EENS9_6detail15normal_iteratorINS9_10device_ptrIiEEEESK_iNS9_4plusIvEENS9_8equal_toIvEEiEE10hipError_tPvRmT2_T3_T4_T5_mT6_T7_P12ihipStream_tbENKUlT_T0_E_clISt17integral_constantIbLb1EES14_IbLb0EEEEDaS10_S11_EUlS10_E_NS1_11comp_targetILNS1_3genE10ELNS1_11target_archE1200ELNS1_3gpuE4ELNS1_3repE0EEENS1_30default_config_static_selectorELNS0_4arch9wavefront6targetE1EEEvT1_.uses_flat_scratch, 0
	.set _ZN7rocprim17ROCPRIM_400000_NS6detail17trampoline_kernelINS0_14default_configENS1_27scan_by_key_config_selectorImiEEZZNS1_16scan_by_key_implILNS1_25lookback_scan_determinismE0ELb0ES3_N6thrust23THRUST_200600_302600_NS18transform_iteratorI9row_indexNS9_17counting_iteratorImNS9_11use_defaultESD_SD_EESD_SD_EENS9_6detail15normal_iteratorINS9_10device_ptrIiEEEESK_iNS9_4plusIvEENS9_8equal_toIvEEiEE10hipError_tPvRmT2_T3_T4_T5_mT6_T7_P12ihipStream_tbENKUlT_T0_E_clISt17integral_constantIbLb1EES14_IbLb0EEEEDaS10_S11_EUlS10_E_NS1_11comp_targetILNS1_3genE10ELNS1_11target_archE1200ELNS1_3gpuE4ELNS1_3repE0EEENS1_30default_config_static_selectorELNS0_4arch9wavefront6targetE1EEEvT1_.has_dyn_sized_stack, 0
	.set _ZN7rocprim17ROCPRIM_400000_NS6detail17trampoline_kernelINS0_14default_configENS1_27scan_by_key_config_selectorImiEEZZNS1_16scan_by_key_implILNS1_25lookback_scan_determinismE0ELb0ES3_N6thrust23THRUST_200600_302600_NS18transform_iteratorI9row_indexNS9_17counting_iteratorImNS9_11use_defaultESD_SD_EESD_SD_EENS9_6detail15normal_iteratorINS9_10device_ptrIiEEEESK_iNS9_4plusIvEENS9_8equal_toIvEEiEE10hipError_tPvRmT2_T3_T4_T5_mT6_T7_P12ihipStream_tbENKUlT_T0_E_clISt17integral_constantIbLb1EES14_IbLb0EEEEDaS10_S11_EUlS10_E_NS1_11comp_targetILNS1_3genE10ELNS1_11target_archE1200ELNS1_3gpuE4ELNS1_3repE0EEENS1_30default_config_static_selectorELNS0_4arch9wavefront6targetE1EEEvT1_.has_recursion, 0
	.set _ZN7rocprim17ROCPRIM_400000_NS6detail17trampoline_kernelINS0_14default_configENS1_27scan_by_key_config_selectorImiEEZZNS1_16scan_by_key_implILNS1_25lookback_scan_determinismE0ELb0ES3_N6thrust23THRUST_200600_302600_NS18transform_iteratorI9row_indexNS9_17counting_iteratorImNS9_11use_defaultESD_SD_EESD_SD_EENS9_6detail15normal_iteratorINS9_10device_ptrIiEEEESK_iNS9_4plusIvEENS9_8equal_toIvEEiEE10hipError_tPvRmT2_T3_T4_T5_mT6_T7_P12ihipStream_tbENKUlT_T0_E_clISt17integral_constantIbLb1EES14_IbLb0EEEEDaS10_S11_EUlS10_E_NS1_11comp_targetILNS1_3genE10ELNS1_11target_archE1200ELNS1_3gpuE4ELNS1_3repE0EEENS1_30default_config_static_selectorELNS0_4arch9wavefront6targetE1EEEvT1_.has_indirect_call, 0
	.section	.AMDGPU.csdata,"",@progbits
; Kernel info:
; codeLenInByte = 0
; TotalNumSgprs: 4
; NumVgprs: 0
; ScratchSize: 0
; MemoryBound: 0
; FloatMode: 240
; IeeeMode: 1
; LDSByteSize: 0 bytes/workgroup (compile time only)
; SGPRBlocks: 0
; VGPRBlocks: 0
; NumSGPRsForWavesPerEU: 4
; NumVGPRsForWavesPerEU: 1
; Occupancy: 10
; WaveLimiterHint : 0
; COMPUTE_PGM_RSRC2:SCRATCH_EN: 0
; COMPUTE_PGM_RSRC2:USER_SGPR: 6
; COMPUTE_PGM_RSRC2:TRAP_HANDLER: 0
; COMPUTE_PGM_RSRC2:TGID_X_EN: 1
; COMPUTE_PGM_RSRC2:TGID_Y_EN: 0
; COMPUTE_PGM_RSRC2:TGID_Z_EN: 0
; COMPUTE_PGM_RSRC2:TIDIG_COMP_CNT: 0
	.section	.text._ZN7rocprim17ROCPRIM_400000_NS6detail17trampoline_kernelINS0_14default_configENS1_27scan_by_key_config_selectorImiEEZZNS1_16scan_by_key_implILNS1_25lookback_scan_determinismE0ELb0ES3_N6thrust23THRUST_200600_302600_NS18transform_iteratorI9row_indexNS9_17counting_iteratorImNS9_11use_defaultESD_SD_EESD_SD_EENS9_6detail15normal_iteratorINS9_10device_ptrIiEEEESK_iNS9_4plusIvEENS9_8equal_toIvEEiEE10hipError_tPvRmT2_T3_T4_T5_mT6_T7_P12ihipStream_tbENKUlT_T0_E_clISt17integral_constantIbLb1EES14_IbLb0EEEEDaS10_S11_EUlS10_E_NS1_11comp_targetILNS1_3genE9ELNS1_11target_archE1100ELNS1_3gpuE3ELNS1_3repE0EEENS1_30default_config_static_selectorELNS0_4arch9wavefront6targetE1EEEvT1_,"axG",@progbits,_ZN7rocprim17ROCPRIM_400000_NS6detail17trampoline_kernelINS0_14default_configENS1_27scan_by_key_config_selectorImiEEZZNS1_16scan_by_key_implILNS1_25lookback_scan_determinismE0ELb0ES3_N6thrust23THRUST_200600_302600_NS18transform_iteratorI9row_indexNS9_17counting_iteratorImNS9_11use_defaultESD_SD_EESD_SD_EENS9_6detail15normal_iteratorINS9_10device_ptrIiEEEESK_iNS9_4plusIvEENS9_8equal_toIvEEiEE10hipError_tPvRmT2_T3_T4_T5_mT6_T7_P12ihipStream_tbENKUlT_T0_E_clISt17integral_constantIbLb1EES14_IbLb0EEEEDaS10_S11_EUlS10_E_NS1_11comp_targetILNS1_3genE9ELNS1_11target_archE1100ELNS1_3gpuE3ELNS1_3repE0EEENS1_30default_config_static_selectorELNS0_4arch9wavefront6targetE1EEEvT1_,comdat
	.protected	_ZN7rocprim17ROCPRIM_400000_NS6detail17trampoline_kernelINS0_14default_configENS1_27scan_by_key_config_selectorImiEEZZNS1_16scan_by_key_implILNS1_25lookback_scan_determinismE0ELb0ES3_N6thrust23THRUST_200600_302600_NS18transform_iteratorI9row_indexNS9_17counting_iteratorImNS9_11use_defaultESD_SD_EESD_SD_EENS9_6detail15normal_iteratorINS9_10device_ptrIiEEEESK_iNS9_4plusIvEENS9_8equal_toIvEEiEE10hipError_tPvRmT2_T3_T4_T5_mT6_T7_P12ihipStream_tbENKUlT_T0_E_clISt17integral_constantIbLb1EES14_IbLb0EEEEDaS10_S11_EUlS10_E_NS1_11comp_targetILNS1_3genE9ELNS1_11target_archE1100ELNS1_3gpuE3ELNS1_3repE0EEENS1_30default_config_static_selectorELNS0_4arch9wavefront6targetE1EEEvT1_ ; -- Begin function _ZN7rocprim17ROCPRIM_400000_NS6detail17trampoline_kernelINS0_14default_configENS1_27scan_by_key_config_selectorImiEEZZNS1_16scan_by_key_implILNS1_25lookback_scan_determinismE0ELb0ES3_N6thrust23THRUST_200600_302600_NS18transform_iteratorI9row_indexNS9_17counting_iteratorImNS9_11use_defaultESD_SD_EESD_SD_EENS9_6detail15normal_iteratorINS9_10device_ptrIiEEEESK_iNS9_4plusIvEENS9_8equal_toIvEEiEE10hipError_tPvRmT2_T3_T4_T5_mT6_T7_P12ihipStream_tbENKUlT_T0_E_clISt17integral_constantIbLb1EES14_IbLb0EEEEDaS10_S11_EUlS10_E_NS1_11comp_targetILNS1_3genE9ELNS1_11target_archE1100ELNS1_3gpuE3ELNS1_3repE0EEENS1_30default_config_static_selectorELNS0_4arch9wavefront6targetE1EEEvT1_
	.globl	_ZN7rocprim17ROCPRIM_400000_NS6detail17trampoline_kernelINS0_14default_configENS1_27scan_by_key_config_selectorImiEEZZNS1_16scan_by_key_implILNS1_25lookback_scan_determinismE0ELb0ES3_N6thrust23THRUST_200600_302600_NS18transform_iteratorI9row_indexNS9_17counting_iteratorImNS9_11use_defaultESD_SD_EESD_SD_EENS9_6detail15normal_iteratorINS9_10device_ptrIiEEEESK_iNS9_4plusIvEENS9_8equal_toIvEEiEE10hipError_tPvRmT2_T3_T4_T5_mT6_T7_P12ihipStream_tbENKUlT_T0_E_clISt17integral_constantIbLb1EES14_IbLb0EEEEDaS10_S11_EUlS10_E_NS1_11comp_targetILNS1_3genE9ELNS1_11target_archE1100ELNS1_3gpuE3ELNS1_3repE0EEENS1_30default_config_static_selectorELNS0_4arch9wavefront6targetE1EEEvT1_
	.p2align	8
	.type	_ZN7rocprim17ROCPRIM_400000_NS6detail17trampoline_kernelINS0_14default_configENS1_27scan_by_key_config_selectorImiEEZZNS1_16scan_by_key_implILNS1_25lookback_scan_determinismE0ELb0ES3_N6thrust23THRUST_200600_302600_NS18transform_iteratorI9row_indexNS9_17counting_iteratorImNS9_11use_defaultESD_SD_EESD_SD_EENS9_6detail15normal_iteratorINS9_10device_ptrIiEEEESK_iNS9_4plusIvEENS9_8equal_toIvEEiEE10hipError_tPvRmT2_T3_T4_T5_mT6_T7_P12ihipStream_tbENKUlT_T0_E_clISt17integral_constantIbLb1EES14_IbLb0EEEEDaS10_S11_EUlS10_E_NS1_11comp_targetILNS1_3genE9ELNS1_11target_archE1100ELNS1_3gpuE3ELNS1_3repE0EEENS1_30default_config_static_selectorELNS0_4arch9wavefront6targetE1EEEvT1_,@function
_ZN7rocprim17ROCPRIM_400000_NS6detail17trampoline_kernelINS0_14default_configENS1_27scan_by_key_config_selectorImiEEZZNS1_16scan_by_key_implILNS1_25lookback_scan_determinismE0ELb0ES3_N6thrust23THRUST_200600_302600_NS18transform_iteratorI9row_indexNS9_17counting_iteratorImNS9_11use_defaultESD_SD_EESD_SD_EENS9_6detail15normal_iteratorINS9_10device_ptrIiEEEESK_iNS9_4plusIvEENS9_8equal_toIvEEiEE10hipError_tPvRmT2_T3_T4_T5_mT6_T7_P12ihipStream_tbENKUlT_T0_E_clISt17integral_constantIbLb1EES14_IbLb0EEEEDaS10_S11_EUlS10_E_NS1_11comp_targetILNS1_3genE9ELNS1_11target_archE1100ELNS1_3gpuE3ELNS1_3repE0EEENS1_30default_config_static_selectorELNS0_4arch9wavefront6targetE1EEEvT1_: ; @_ZN7rocprim17ROCPRIM_400000_NS6detail17trampoline_kernelINS0_14default_configENS1_27scan_by_key_config_selectorImiEEZZNS1_16scan_by_key_implILNS1_25lookback_scan_determinismE0ELb0ES3_N6thrust23THRUST_200600_302600_NS18transform_iteratorI9row_indexNS9_17counting_iteratorImNS9_11use_defaultESD_SD_EESD_SD_EENS9_6detail15normal_iteratorINS9_10device_ptrIiEEEESK_iNS9_4plusIvEENS9_8equal_toIvEEiEE10hipError_tPvRmT2_T3_T4_T5_mT6_T7_P12ihipStream_tbENKUlT_T0_E_clISt17integral_constantIbLb1EES14_IbLb0EEEEDaS10_S11_EUlS10_E_NS1_11comp_targetILNS1_3genE9ELNS1_11target_archE1100ELNS1_3gpuE3ELNS1_3repE0EEENS1_30default_config_static_selectorELNS0_4arch9wavefront6targetE1EEEvT1_
; %bb.0:
	.section	.rodata,"a",@progbits
	.p2align	6, 0x0
	.amdhsa_kernel _ZN7rocprim17ROCPRIM_400000_NS6detail17trampoline_kernelINS0_14default_configENS1_27scan_by_key_config_selectorImiEEZZNS1_16scan_by_key_implILNS1_25lookback_scan_determinismE0ELb0ES3_N6thrust23THRUST_200600_302600_NS18transform_iteratorI9row_indexNS9_17counting_iteratorImNS9_11use_defaultESD_SD_EESD_SD_EENS9_6detail15normal_iteratorINS9_10device_ptrIiEEEESK_iNS9_4plusIvEENS9_8equal_toIvEEiEE10hipError_tPvRmT2_T3_T4_T5_mT6_T7_P12ihipStream_tbENKUlT_T0_E_clISt17integral_constantIbLb1EES14_IbLb0EEEEDaS10_S11_EUlS10_E_NS1_11comp_targetILNS1_3genE9ELNS1_11target_archE1100ELNS1_3gpuE3ELNS1_3repE0EEENS1_30default_config_static_selectorELNS0_4arch9wavefront6targetE1EEEvT1_
		.amdhsa_group_segment_fixed_size 0
		.amdhsa_private_segment_fixed_size 0
		.amdhsa_kernarg_size 120
		.amdhsa_user_sgpr_count 6
		.amdhsa_user_sgpr_private_segment_buffer 1
		.amdhsa_user_sgpr_dispatch_ptr 0
		.amdhsa_user_sgpr_queue_ptr 0
		.amdhsa_user_sgpr_kernarg_segment_ptr 1
		.amdhsa_user_sgpr_dispatch_id 0
		.amdhsa_user_sgpr_flat_scratch_init 0
		.amdhsa_user_sgpr_private_segment_size 0
		.amdhsa_uses_dynamic_stack 0
		.amdhsa_system_sgpr_private_segment_wavefront_offset 0
		.amdhsa_system_sgpr_workgroup_id_x 1
		.amdhsa_system_sgpr_workgroup_id_y 0
		.amdhsa_system_sgpr_workgroup_id_z 0
		.amdhsa_system_sgpr_workgroup_info 0
		.amdhsa_system_vgpr_workitem_id 0
		.amdhsa_next_free_vgpr 1
		.amdhsa_next_free_sgpr 0
		.amdhsa_reserve_vcc 0
		.amdhsa_reserve_flat_scratch 0
		.amdhsa_float_round_mode_32 0
		.amdhsa_float_round_mode_16_64 0
		.amdhsa_float_denorm_mode_32 3
		.amdhsa_float_denorm_mode_16_64 3
		.amdhsa_dx10_clamp 1
		.amdhsa_ieee_mode 1
		.amdhsa_fp16_overflow 0
		.amdhsa_exception_fp_ieee_invalid_op 0
		.amdhsa_exception_fp_denorm_src 0
		.amdhsa_exception_fp_ieee_div_zero 0
		.amdhsa_exception_fp_ieee_overflow 0
		.amdhsa_exception_fp_ieee_underflow 0
		.amdhsa_exception_fp_ieee_inexact 0
		.amdhsa_exception_int_div_zero 0
	.end_amdhsa_kernel
	.section	.text._ZN7rocprim17ROCPRIM_400000_NS6detail17trampoline_kernelINS0_14default_configENS1_27scan_by_key_config_selectorImiEEZZNS1_16scan_by_key_implILNS1_25lookback_scan_determinismE0ELb0ES3_N6thrust23THRUST_200600_302600_NS18transform_iteratorI9row_indexNS9_17counting_iteratorImNS9_11use_defaultESD_SD_EESD_SD_EENS9_6detail15normal_iteratorINS9_10device_ptrIiEEEESK_iNS9_4plusIvEENS9_8equal_toIvEEiEE10hipError_tPvRmT2_T3_T4_T5_mT6_T7_P12ihipStream_tbENKUlT_T0_E_clISt17integral_constantIbLb1EES14_IbLb0EEEEDaS10_S11_EUlS10_E_NS1_11comp_targetILNS1_3genE9ELNS1_11target_archE1100ELNS1_3gpuE3ELNS1_3repE0EEENS1_30default_config_static_selectorELNS0_4arch9wavefront6targetE1EEEvT1_,"axG",@progbits,_ZN7rocprim17ROCPRIM_400000_NS6detail17trampoline_kernelINS0_14default_configENS1_27scan_by_key_config_selectorImiEEZZNS1_16scan_by_key_implILNS1_25lookback_scan_determinismE0ELb0ES3_N6thrust23THRUST_200600_302600_NS18transform_iteratorI9row_indexNS9_17counting_iteratorImNS9_11use_defaultESD_SD_EESD_SD_EENS9_6detail15normal_iteratorINS9_10device_ptrIiEEEESK_iNS9_4plusIvEENS9_8equal_toIvEEiEE10hipError_tPvRmT2_T3_T4_T5_mT6_T7_P12ihipStream_tbENKUlT_T0_E_clISt17integral_constantIbLb1EES14_IbLb0EEEEDaS10_S11_EUlS10_E_NS1_11comp_targetILNS1_3genE9ELNS1_11target_archE1100ELNS1_3gpuE3ELNS1_3repE0EEENS1_30default_config_static_selectorELNS0_4arch9wavefront6targetE1EEEvT1_,comdat
.Lfunc_end32:
	.size	_ZN7rocprim17ROCPRIM_400000_NS6detail17trampoline_kernelINS0_14default_configENS1_27scan_by_key_config_selectorImiEEZZNS1_16scan_by_key_implILNS1_25lookback_scan_determinismE0ELb0ES3_N6thrust23THRUST_200600_302600_NS18transform_iteratorI9row_indexNS9_17counting_iteratorImNS9_11use_defaultESD_SD_EESD_SD_EENS9_6detail15normal_iteratorINS9_10device_ptrIiEEEESK_iNS9_4plusIvEENS9_8equal_toIvEEiEE10hipError_tPvRmT2_T3_T4_T5_mT6_T7_P12ihipStream_tbENKUlT_T0_E_clISt17integral_constantIbLb1EES14_IbLb0EEEEDaS10_S11_EUlS10_E_NS1_11comp_targetILNS1_3genE9ELNS1_11target_archE1100ELNS1_3gpuE3ELNS1_3repE0EEENS1_30default_config_static_selectorELNS0_4arch9wavefront6targetE1EEEvT1_, .Lfunc_end32-_ZN7rocprim17ROCPRIM_400000_NS6detail17trampoline_kernelINS0_14default_configENS1_27scan_by_key_config_selectorImiEEZZNS1_16scan_by_key_implILNS1_25lookback_scan_determinismE0ELb0ES3_N6thrust23THRUST_200600_302600_NS18transform_iteratorI9row_indexNS9_17counting_iteratorImNS9_11use_defaultESD_SD_EESD_SD_EENS9_6detail15normal_iteratorINS9_10device_ptrIiEEEESK_iNS9_4plusIvEENS9_8equal_toIvEEiEE10hipError_tPvRmT2_T3_T4_T5_mT6_T7_P12ihipStream_tbENKUlT_T0_E_clISt17integral_constantIbLb1EES14_IbLb0EEEEDaS10_S11_EUlS10_E_NS1_11comp_targetILNS1_3genE9ELNS1_11target_archE1100ELNS1_3gpuE3ELNS1_3repE0EEENS1_30default_config_static_selectorELNS0_4arch9wavefront6targetE1EEEvT1_
                                        ; -- End function
	.set _ZN7rocprim17ROCPRIM_400000_NS6detail17trampoline_kernelINS0_14default_configENS1_27scan_by_key_config_selectorImiEEZZNS1_16scan_by_key_implILNS1_25lookback_scan_determinismE0ELb0ES3_N6thrust23THRUST_200600_302600_NS18transform_iteratorI9row_indexNS9_17counting_iteratorImNS9_11use_defaultESD_SD_EESD_SD_EENS9_6detail15normal_iteratorINS9_10device_ptrIiEEEESK_iNS9_4plusIvEENS9_8equal_toIvEEiEE10hipError_tPvRmT2_T3_T4_T5_mT6_T7_P12ihipStream_tbENKUlT_T0_E_clISt17integral_constantIbLb1EES14_IbLb0EEEEDaS10_S11_EUlS10_E_NS1_11comp_targetILNS1_3genE9ELNS1_11target_archE1100ELNS1_3gpuE3ELNS1_3repE0EEENS1_30default_config_static_selectorELNS0_4arch9wavefront6targetE1EEEvT1_.num_vgpr, 0
	.set _ZN7rocprim17ROCPRIM_400000_NS6detail17trampoline_kernelINS0_14default_configENS1_27scan_by_key_config_selectorImiEEZZNS1_16scan_by_key_implILNS1_25lookback_scan_determinismE0ELb0ES3_N6thrust23THRUST_200600_302600_NS18transform_iteratorI9row_indexNS9_17counting_iteratorImNS9_11use_defaultESD_SD_EESD_SD_EENS9_6detail15normal_iteratorINS9_10device_ptrIiEEEESK_iNS9_4plusIvEENS9_8equal_toIvEEiEE10hipError_tPvRmT2_T3_T4_T5_mT6_T7_P12ihipStream_tbENKUlT_T0_E_clISt17integral_constantIbLb1EES14_IbLb0EEEEDaS10_S11_EUlS10_E_NS1_11comp_targetILNS1_3genE9ELNS1_11target_archE1100ELNS1_3gpuE3ELNS1_3repE0EEENS1_30default_config_static_selectorELNS0_4arch9wavefront6targetE1EEEvT1_.num_agpr, 0
	.set _ZN7rocprim17ROCPRIM_400000_NS6detail17trampoline_kernelINS0_14default_configENS1_27scan_by_key_config_selectorImiEEZZNS1_16scan_by_key_implILNS1_25lookback_scan_determinismE0ELb0ES3_N6thrust23THRUST_200600_302600_NS18transform_iteratorI9row_indexNS9_17counting_iteratorImNS9_11use_defaultESD_SD_EESD_SD_EENS9_6detail15normal_iteratorINS9_10device_ptrIiEEEESK_iNS9_4plusIvEENS9_8equal_toIvEEiEE10hipError_tPvRmT2_T3_T4_T5_mT6_T7_P12ihipStream_tbENKUlT_T0_E_clISt17integral_constantIbLb1EES14_IbLb0EEEEDaS10_S11_EUlS10_E_NS1_11comp_targetILNS1_3genE9ELNS1_11target_archE1100ELNS1_3gpuE3ELNS1_3repE0EEENS1_30default_config_static_selectorELNS0_4arch9wavefront6targetE1EEEvT1_.numbered_sgpr, 0
	.set _ZN7rocprim17ROCPRIM_400000_NS6detail17trampoline_kernelINS0_14default_configENS1_27scan_by_key_config_selectorImiEEZZNS1_16scan_by_key_implILNS1_25lookback_scan_determinismE0ELb0ES3_N6thrust23THRUST_200600_302600_NS18transform_iteratorI9row_indexNS9_17counting_iteratorImNS9_11use_defaultESD_SD_EESD_SD_EENS9_6detail15normal_iteratorINS9_10device_ptrIiEEEESK_iNS9_4plusIvEENS9_8equal_toIvEEiEE10hipError_tPvRmT2_T3_T4_T5_mT6_T7_P12ihipStream_tbENKUlT_T0_E_clISt17integral_constantIbLb1EES14_IbLb0EEEEDaS10_S11_EUlS10_E_NS1_11comp_targetILNS1_3genE9ELNS1_11target_archE1100ELNS1_3gpuE3ELNS1_3repE0EEENS1_30default_config_static_selectorELNS0_4arch9wavefront6targetE1EEEvT1_.num_named_barrier, 0
	.set _ZN7rocprim17ROCPRIM_400000_NS6detail17trampoline_kernelINS0_14default_configENS1_27scan_by_key_config_selectorImiEEZZNS1_16scan_by_key_implILNS1_25lookback_scan_determinismE0ELb0ES3_N6thrust23THRUST_200600_302600_NS18transform_iteratorI9row_indexNS9_17counting_iteratorImNS9_11use_defaultESD_SD_EESD_SD_EENS9_6detail15normal_iteratorINS9_10device_ptrIiEEEESK_iNS9_4plusIvEENS9_8equal_toIvEEiEE10hipError_tPvRmT2_T3_T4_T5_mT6_T7_P12ihipStream_tbENKUlT_T0_E_clISt17integral_constantIbLb1EES14_IbLb0EEEEDaS10_S11_EUlS10_E_NS1_11comp_targetILNS1_3genE9ELNS1_11target_archE1100ELNS1_3gpuE3ELNS1_3repE0EEENS1_30default_config_static_selectorELNS0_4arch9wavefront6targetE1EEEvT1_.private_seg_size, 0
	.set _ZN7rocprim17ROCPRIM_400000_NS6detail17trampoline_kernelINS0_14default_configENS1_27scan_by_key_config_selectorImiEEZZNS1_16scan_by_key_implILNS1_25lookback_scan_determinismE0ELb0ES3_N6thrust23THRUST_200600_302600_NS18transform_iteratorI9row_indexNS9_17counting_iteratorImNS9_11use_defaultESD_SD_EESD_SD_EENS9_6detail15normal_iteratorINS9_10device_ptrIiEEEESK_iNS9_4plusIvEENS9_8equal_toIvEEiEE10hipError_tPvRmT2_T3_T4_T5_mT6_T7_P12ihipStream_tbENKUlT_T0_E_clISt17integral_constantIbLb1EES14_IbLb0EEEEDaS10_S11_EUlS10_E_NS1_11comp_targetILNS1_3genE9ELNS1_11target_archE1100ELNS1_3gpuE3ELNS1_3repE0EEENS1_30default_config_static_selectorELNS0_4arch9wavefront6targetE1EEEvT1_.uses_vcc, 0
	.set _ZN7rocprim17ROCPRIM_400000_NS6detail17trampoline_kernelINS0_14default_configENS1_27scan_by_key_config_selectorImiEEZZNS1_16scan_by_key_implILNS1_25lookback_scan_determinismE0ELb0ES3_N6thrust23THRUST_200600_302600_NS18transform_iteratorI9row_indexNS9_17counting_iteratorImNS9_11use_defaultESD_SD_EESD_SD_EENS9_6detail15normal_iteratorINS9_10device_ptrIiEEEESK_iNS9_4plusIvEENS9_8equal_toIvEEiEE10hipError_tPvRmT2_T3_T4_T5_mT6_T7_P12ihipStream_tbENKUlT_T0_E_clISt17integral_constantIbLb1EES14_IbLb0EEEEDaS10_S11_EUlS10_E_NS1_11comp_targetILNS1_3genE9ELNS1_11target_archE1100ELNS1_3gpuE3ELNS1_3repE0EEENS1_30default_config_static_selectorELNS0_4arch9wavefront6targetE1EEEvT1_.uses_flat_scratch, 0
	.set _ZN7rocprim17ROCPRIM_400000_NS6detail17trampoline_kernelINS0_14default_configENS1_27scan_by_key_config_selectorImiEEZZNS1_16scan_by_key_implILNS1_25lookback_scan_determinismE0ELb0ES3_N6thrust23THRUST_200600_302600_NS18transform_iteratorI9row_indexNS9_17counting_iteratorImNS9_11use_defaultESD_SD_EESD_SD_EENS9_6detail15normal_iteratorINS9_10device_ptrIiEEEESK_iNS9_4plusIvEENS9_8equal_toIvEEiEE10hipError_tPvRmT2_T3_T4_T5_mT6_T7_P12ihipStream_tbENKUlT_T0_E_clISt17integral_constantIbLb1EES14_IbLb0EEEEDaS10_S11_EUlS10_E_NS1_11comp_targetILNS1_3genE9ELNS1_11target_archE1100ELNS1_3gpuE3ELNS1_3repE0EEENS1_30default_config_static_selectorELNS0_4arch9wavefront6targetE1EEEvT1_.has_dyn_sized_stack, 0
	.set _ZN7rocprim17ROCPRIM_400000_NS6detail17trampoline_kernelINS0_14default_configENS1_27scan_by_key_config_selectorImiEEZZNS1_16scan_by_key_implILNS1_25lookback_scan_determinismE0ELb0ES3_N6thrust23THRUST_200600_302600_NS18transform_iteratorI9row_indexNS9_17counting_iteratorImNS9_11use_defaultESD_SD_EESD_SD_EENS9_6detail15normal_iteratorINS9_10device_ptrIiEEEESK_iNS9_4plusIvEENS9_8equal_toIvEEiEE10hipError_tPvRmT2_T3_T4_T5_mT6_T7_P12ihipStream_tbENKUlT_T0_E_clISt17integral_constantIbLb1EES14_IbLb0EEEEDaS10_S11_EUlS10_E_NS1_11comp_targetILNS1_3genE9ELNS1_11target_archE1100ELNS1_3gpuE3ELNS1_3repE0EEENS1_30default_config_static_selectorELNS0_4arch9wavefront6targetE1EEEvT1_.has_recursion, 0
	.set _ZN7rocprim17ROCPRIM_400000_NS6detail17trampoline_kernelINS0_14default_configENS1_27scan_by_key_config_selectorImiEEZZNS1_16scan_by_key_implILNS1_25lookback_scan_determinismE0ELb0ES3_N6thrust23THRUST_200600_302600_NS18transform_iteratorI9row_indexNS9_17counting_iteratorImNS9_11use_defaultESD_SD_EESD_SD_EENS9_6detail15normal_iteratorINS9_10device_ptrIiEEEESK_iNS9_4plusIvEENS9_8equal_toIvEEiEE10hipError_tPvRmT2_T3_T4_T5_mT6_T7_P12ihipStream_tbENKUlT_T0_E_clISt17integral_constantIbLb1EES14_IbLb0EEEEDaS10_S11_EUlS10_E_NS1_11comp_targetILNS1_3genE9ELNS1_11target_archE1100ELNS1_3gpuE3ELNS1_3repE0EEENS1_30default_config_static_selectorELNS0_4arch9wavefront6targetE1EEEvT1_.has_indirect_call, 0
	.section	.AMDGPU.csdata,"",@progbits
; Kernel info:
; codeLenInByte = 0
; TotalNumSgprs: 4
; NumVgprs: 0
; ScratchSize: 0
; MemoryBound: 0
; FloatMode: 240
; IeeeMode: 1
; LDSByteSize: 0 bytes/workgroup (compile time only)
; SGPRBlocks: 0
; VGPRBlocks: 0
; NumSGPRsForWavesPerEU: 4
; NumVGPRsForWavesPerEU: 1
; Occupancy: 10
; WaveLimiterHint : 0
; COMPUTE_PGM_RSRC2:SCRATCH_EN: 0
; COMPUTE_PGM_RSRC2:USER_SGPR: 6
; COMPUTE_PGM_RSRC2:TRAP_HANDLER: 0
; COMPUTE_PGM_RSRC2:TGID_X_EN: 1
; COMPUTE_PGM_RSRC2:TGID_Y_EN: 0
; COMPUTE_PGM_RSRC2:TGID_Z_EN: 0
; COMPUTE_PGM_RSRC2:TIDIG_COMP_CNT: 0
	.section	.text._ZN7rocprim17ROCPRIM_400000_NS6detail17trampoline_kernelINS0_14default_configENS1_27scan_by_key_config_selectorImiEEZZNS1_16scan_by_key_implILNS1_25lookback_scan_determinismE0ELb0ES3_N6thrust23THRUST_200600_302600_NS18transform_iteratorI9row_indexNS9_17counting_iteratorImNS9_11use_defaultESD_SD_EESD_SD_EENS9_6detail15normal_iteratorINS9_10device_ptrIiEEEESK_iNS9_4plusIvEENS9_8equal_toIvEEiEE10hipError_tPvRmT2_T3_T4_T5_mT6_T7_P12ihipStream_tbENKUlT_T0_E_clISt17integral_constantIbLb1EES14_IbLb0EEEEDaS10_S11_EUlS10_E_NS1_11comp_targetILNS1_3genE8ELNS1_11target_archE1030ELNS1_3gpuE2ELNS1_3repE0EEENS1_30default_config_static_selectorELNS0_4arch9wavefront6targetE1EEEvT1_,"axG",@progbits,_ZN7rocprim17ROCPRIM_400000_NS6detail17trampoline_kernelINS0_14default_configENS1_27scan_by_key_config_selectorImiEEZZNS1_16scan_by_key_implILNS1_25lookback_scan_determinismE0ELb0ES3_N6thrust23THRUST_200600_302600_NS18transform_iteratorI9row_indexNS9_17counting_iteratorImNS9_11use_defaultESD_SD_EESD_SD_EENS9_6detail15normal_iteratorINS9_10device_ptrIiEEEESK_iNS9_4plusIvEENS9_8equal_toIvEEiEE10hipError_tPvRmT2_T3_T4_T5_mT6_T7_P12ihipStream_tbENKUlT_T0_E_clISt17integral_constantIbLb1EES14_IbLb0EEEEDaS10_S11_EUlS10_E_NS1_11comp_targetILNS1_3genE8ELNS1_11target_archE1030ELNS1_3gpuE2ELNS1_3repE0EEENS1_30default_config_static_selectorELNS0_4arch9wavefront6targetE1EEEvT1_,comdat
	.protected	_ZN7rocprim17ROCPRIM_400000_NS6detail17trampoline_kernelINS0_14default_configENS1_27scan_by_key_config_selectorImiEEZZNS1_16scan_by_key_implILNS1_25lookback_scan_determinismE0ELb0ES3_N6thrust23THRUST_200600_302600_NS18transform_iteratorI9row_indexNS9_17counting_iteratorImNS9_11use_defaultESD_SD_EESD_SD_EENS9_6detail15normal_iteratorINS9_10device_ptrIiEEEESK_iNS9_4plusIvEENS9_8equal_toIvEEiEE10hipError_tPvRmT2_T3_T4_T5_mT6_T7_P12ihipStream_tbENKUlT_T0_E_clISt17integral_constantIbLb1EES14_IbLb0EEEEDaS10_S11_EUlS10_E_NS1_11comp_targetILNS1_3genE8ELNS1_11target_archE1030ELNS1_3gpuE2ELNS1_3repE0EEENS1_30default_config_static_selectorELNS0_4arch9wavefront6targetE1EEEvT1_ ; -- Begin function _ZN7rocprim17ROCPRIM_400000_NS6detail17trampoline_kernelINS0_14default_configENS1_27scan_by_key_config_selectorImiEEZZNS1_16scan_by_key_implILNS1_25lookback_scan_determinismE0ELb0ES3_N6thrust23THRUST_200600_302600_NS18transform_iteratorI9row_indexNS9_17counting_iteratorImNS9_11use_defaultESD_SD_EESD_SD_EENS9_6detail15normal_iteratorINS9_10device_ptrIiEEEESK_iNS9_4plusIvEENS9_8equal_toIvEEiEE10hipError_tPvRmT2_T3_T4_T5_mT6_T7_P12ihipStream_tbENKUlT_T0_E_clISt17integral_constantIbLb1EES14_IbLb0EEEEDaS10_S11_EUlS10_E_NS1_11comp_targetILNS1_3genE8ELNS1_11target_archE1030ELNS1_3gpuE2ELNS1_3repE0EEENS1_30default_config_static_selectorELNS0_4arch9wavefront6targetE1EEEvT1_
	.globl	_ZN7rocprim17ROCPRIM_400000_NS6detail17trampoline_kernelINS0_14default_configENS1_27scan_by_key_config_selectorImiEEZZNS1_16scan_by_key_implILNS1_25lookback_scan_determinismE0ELb0ES3_N6thrust23THRUST_200600_302600_NS18transform_iteratorI9row_indexNS9_17counting_iteratorImNS9_11use_defaultESD_SD_EESD_SD_EENS9_6detail15normal_iteratorINS9_10device_ptrIiEEEESK_iNS9_4plusIvEENS9_8equal_toIvEEiEE10hipError_tPvRmT2_T3_T4_T5_mT6_T7_P12ihipStream_tbENKUlT_T0_E_clISt17integral_constantIbLb1EES14_IbLb0EEEEDaS10_S11_EUlS10_E_NS1_11comp_targetILNS1_3genE8ELNS1_11target_archE1030ELNS1_3gpuE2ELNS1_3repE0EEENS1_30default_config_static_selectorELNS0_4arch9wavefront6targetE1EEEvT1_
	.p2align	8
	.type	_ZN7rocprim17ROCPRIM_400000_NS6detail17trampoline_kernelINS0_14default_configENS1_27scan_by_key_config_selectorImiEEZZNS1_16scan_by_key_implILNS1_25lookback_scan_determinismE0ELb0ES3_N6thrust23THRUST_200600_302600_NS18transform_iteratorI9row_indexNS9_17counting_iteratorImNS9_11use_defaultESD_SD_EESD_SD_EENS9_6detail15normal_iteratorINS9_10device_ptrIiEEEESK_iNS9_4plusIvEENS9_8equal_toIvEEiEE10hipError_tPvRmT2_T3_T4_T5_mT6_T7_P12ihipStream_tbENKUlT_T0_E_clISt17integral_constantIbLb1EES14_IbLb0EEEEDaS10_S11_EUlS10_E_NS1_11comp_targetILNS1_3genE8ELNS1_11target_archE1030ELNS1_3gpuE2ELNS1_3repE0EEENS1_30default_config_static_selectorELNS0_4arch9wavefront6targetE1EEEvT1_,@function
_ZN7rocprim17ROCPRIM_400000_NS6detail17trampoline_kernelINS0_14default_configENS1_27scan_by_key_config_selectorImiEEZZNS1_16scan_by_key_implILNS1_25lookback_scan_determinismE0ELb0ES3_N6thrust23THRUST_200600_302600_NS18transform_iteratorI9row_indexNS9_17counting_iteratorImNS9_11use_defaultESD_SD_EESD_SD_EENS9_6detail15normal_iteratorINS9_10device_ptrIiEEEESK_iNS9_4plusIvEENS9_8equal_toIvEEiEE10hipError_tPvRmT2_T3_T4_T5_mT6_T7_P12ihipStream_tbENKUlT_T0_E_clISt17integral_constantIbLb1EES14_IbLb0EEEEDaS10_S11_EUlS10_E_NS1_11comp_targetILNS1_3genE8ELNS1_11target_archE1030ELNS1_3gpuE2ELNS1_3repE0EEENS1_30default_config_static_selectorELNS0_4arch9wavefront6targetE1EEEvT1_: ; @_ZN7rocprim17ROCPRIM_400000_NS6detail17trampoline_kernelINS0_14default_configENS1_27scan_by_key_config_selectorImiEEZZNS1_16scan_by_key_implILNS1_25lookback_scan_determinismE0ELb0ES3_N6thrust23THRUST_200600_302600_NS18transform_iteratorI9row_indexNS9_17counting_iteratorImNS9_11use_defaultESD_SD_EESD_SD_EENS9_6detail15normal_iteratorINS9_10device_ptrIiEEEESK_iNS9_4plusIvEENS9_8equal_toIvEEiEE10hipError_tPvRmT2_T3_T4_T5_mT6_T7_P12ihipStream_tbENKUlT_T0_E_clISt17integral_constantIbLb1EES14_IbLb0EEEEDaS10_S11_EUlS10_E_NS1_11comp_targetILNS1_3genE8ELNS1_11target_archE1030ELNS1_3gpuE2ELNS1_3repE0EEENS1_30default_config_static_selectorELNS0_4arch9wavefront6targetE1EEEvT1_
; %bb.0:
	.section	.rodata,"a",@progbits
	.p2align	6, 0x0
	.amdhsa_kernel _ZN7rocprim17ROCPRIM_400000_NS6detail17trampoline_kernelINS0_14default_configENS1_27scan_by_key_config_selectorImiEEZZNS1_16scan_by_key_implILNS1_25lookback_scan_determinismE0ELb0ES3_N6thrust23THRUST_200600_302600_NS18transform_iteratorI9row_indexNS9_17counting_iteratorImNS9_11use_defaultESD_SD_EESD_SD_EENS9_6detail15normal_iteratorINS9_10device_ptrIiEEEESK_iNS9_4plusIvEENS9_8equal_toIvEEiEE10hipError_tPvRmT2_T3_T4_T5_mT6_T7_P12ihipStream_tbENKUlT_T0_E_clISt17integral_constantIbLb1EES14_IbLb0EEEEDaS10_S11_EUlS10_E_NS1_11comp_targetILNS1_3genE8ELNS1_11target_archE1030ELNS1_3gpuE2ELNS1_3repE0EEENS1_30default_config_static_selectorELNS0_4arch9wavefront6targetE1EEEvT1_
		.amdhsa_group_segment_fixed_size 0
		.amdhsa_private_segment_fixed_size 0
		.amdhsa_kernarg_size 120
		.amdhsa_user_sgpr_count 6
		.amdhsa_user_sgpr_private_segment_buffer 1
		.amdhsa_user_sgpr_dispatch_ptr 0
		.amdhsa_user_sgpr_queue_ptr 0
		.amdhsa_user_sgpr_kernarg_segment_ptr 1
		.amdhsa_user_sgpr_dispatch_id 0
		.amdhsa_user_sgpr_flat_scratch_init 0
		.amdhsa_user_sgpr_private_segment_size 0
		.amdhsa_uses_dynamic_stack 0
		.amdhsa_system_sgpr_private_segment_wavefront_offset 0
		.amdhsa_system_sgpr_workgroup_id_x 1
		.amdhsa_system_sgpr_workgroup_id_y 0
		.amdhsa_system_sgpr_workgroup_id_z 0
		.amdhsa_system_sgpr_workgroup_info 0
		.amdhsa_system_vgpr_workitem_id 0
		.amdhsa_next_free_vgpr 1
		.amdhsa_next_free_sgpr 0
		.amdhsa_reserve_vcc 0
		.amdhsa_reserve_flat_scratch 0
		.amdhsa_float_round_mode_32 0
		.amdhsa_float_round_mode_16_64 0
		.amdhsa_float_denorm_mode_32 3
		.amdhsa_float_denorm_mode_16_64 3
		.amdhsa_dx10_clamp 1
		.amdhsa_ieee_mode 1
		.amdhsa_fp16_overflow 0
		.amdhsa_exception_fp_ieee_invalid_op 0
		.amdhsa_exception_fp_denorm_src 0
		.amdhsa_exception_fp_ieee_div_zero 0
		.amdhsa_exception_fp_ieee_overflow 0
		.amdhsa_exception_fp_ieee_underflow 0
		.amdhsa_exception_fp_ieee_inexact 0
		.amdhsa_exception_int_div_zero 0
	.end_amdhsa_kernel
	.section	.text._ZN7rocprim17ROCPRIM_400000_NS6detail17trampoline_kernelINS0_14default_configENS1_27scan_by_key_config_selectorImiEEZZNS1_16scan_by_key_implILNS1_25lookback_scan_determinismE0ELb0ES3_N6thrust23THRUST_200600_302600_NS18transform_iteratorI9row_indexNS9_17counting_iteratorImNS9_11use_defaultESD_SD_EESD_SD_EENS9_6detail15normal_iteratorINS9_10device_ptrIiEEEESK_iNS9_4plusIvEENS9_8equal_toIvEEiEE10hipError_tPvRmT2_T3_T4_T5_mT6_T7_P12ihipStream_tbENKUlT_T0_E_clISt17integral_constantIbLb1EES14_IbLb0EEEEDaS10_S11_EUlS10_E_NS1_11comp_targetILNS1_3genE8ELNS1_11target_archE1030ELNS1_3gpuE2ELNS1_3repE0EEENS1_30default_config_static_selectorELNS0_4arch9wavefront6targetE1EEEvT1_,"axG",@progbits,_ZN7rocprim17ROCPRIM_400000_NS6detail17trampoline_kernelINS0_14default_configENS1_27scan_by_key_config_selectorImiEEZZNS1_16scan_by_key_implILNS1_25lookback_scan_determinismE0ELb0ES3_N6thrust23THRUST_200600_302600_NS18transform_iteratorI9row_indexNS9_17counting_iteratorImNS9_11use_defaultESD_SD_EESD_SD_EENS9_6detail15normal_iteratorINS9_10device_ptrIiEEEESK_iNS9_4plusIvEENS9_8equal_toIvEEiEE10hipError_tPvRmT2_T3_T4_T5_mT6_T7_P12ihipStream_tbENKUlT_T0_E_clISt17integral_constantIbLb1EES14_IbLb0EEEEDaS10_S11_EUlS10_E_NS1_11comp_targetILNS1_3genE8ELNS1_11target_archE1030ELNS1_3gpuE2ELNS1_3repE0EEENS1_30default_config_static_selectorELNS0_4arch9wavefront6targetE1EEEvT1_,comdat
.Lfunc_end33:
	.size	_ZN7rocprim17ROCPRIM_400000_NS6detail17trampoline_kernelINS0_14default_configENS1_27scan_by_key_config_selectorImiEEZZNS1_16scan_by_key_implILNS1_25lookback_scan_determinismE0ELb0ES3_N6thrust23THRUST_200600_302600_NS18transform_iteratorI9row_indexNS9_17counting_iteratorImNS9_11use_defaultESD_SD_EESD_SD_EENS9_6detail15normal_iteratorINS9_10device_ptrIiEEEESK_iNS9_4plusIvEENS9_8equal_toIvEEiEE10hipError_tPvRmT2_T3_T4_T5_mT6_T7_P12ihipStream_tbENKUlT_T0_E_clISt17integral_constantIbLb1EES14_IbLb0EEEEDaS10_S11_EUlS10_E_NS1_11comp_targetILNS1_3genE8ELNS1_11target_archE1030ELNS1_3gpuE2ELNS1_3repE0EEENS1_30default_config_static_selectorELNS0_4arch9wavefront6targetE1EEEvT1_, .Lfunc_end33-_ZN7rocprim17ROCPRIM_400000_NS6detail17trampoline_kernelINS0_14default_configENS1_27scan_by_key_config_selectorImiEEZZNS1_16scan_by_key_implILNS1_25lookback_scan_determinismE0ELb0ES3_N6thrust23THRUST_200600_302600_NS18transform_iteratorI9row_indexNS9_17counting_iteratorImNS9_11use_defaultESD_SD_EESD_SD_EENS9_6detail15normal_iteratorINS9_10device_ptrIiEEEESK_iNS9_4plusIvEENS9_8equal_toIvEEiEE10hipError_tPvRmT2_T3_T4_T5_mT6_T7_P12ihipStream_tbENKUlT_T0_E_clISt17integral_constantIbLb1EES14_IbLb0EEEEDaS10_S11_EUlS10_E_NS1_11comp_targetILNS1_3genE8ELNS1_11target_archE1030ELNS1_3gpuE2ELNS1_3repE0EEENS1_30default_config_static_selectorELNS0_4arch9wavefront6targetE1EEEvT1_
                                        ; -- End function
	.set _ZN7rocprim17ROCPRIM_400000_NS6detail17trampoline_kernelINS0_14default_configENS1_27scan_by_key_config_selectorImiEEZZNS1_16scan_by_key_implILNS1_25lookback_scan_determinismE0ELb0ES3_N6thrust23THRUST_200600_302600_NS18transform_iteratorI9row_indexNS9_17counting_iteratorImNS9_11use_defaultESD_SD_EESD_SD_EENS9_6detail15normal_iteratorINS9_10device_ptrIiEEEESK_iNS9_4plusIvEENS9_8equal_toIvEEiEE10hipError_tPvRmT2_T3_T4_T5_mT6_T7_P12ihipStream_tbENKUlT_T0_E_clISt17integral_constantIbLb1EES14_IbLb0EEEEDaS10_S11_EUlS10_E_NS1_11comp_targetILNS1_3genE8ELNS1_11target_archE1030ELNS1_3gpuE2ELNS1_3repE0EEENS1_30default_config_static_selectorELNS0_4arch9wavefront6targetE1EEEvT1_.num_vgpr, 0
	.set _ZN7rocprim17ROCPRIM_400000_NS6detail17trampoline_kernelINS0_14default_configENS1_27scan_by_key_config_selectorImiEEZZNS1_16scan_by_key_implILNS1_25lookback_scan_determinismE0ELb0ES3_N6thrust23THRUST_200600_302600_NS18transform_iteratorI9row_indexNS9_17counting_iteratorImNS9_11use_defaultESD_SD_EESD_SD_EENS9_6detail15normal_iteratorINS9_10device_ptrIiEEEESK_iNS9_4plusIvEENS9_8equal_toIvEEiEE10hipError_tPvRmT2_T3_T4_T5_mT6_T7_P12ihipStream_tbENKUlT_T0_E_clISt17integral_constantIbLb1EES14_IbLb0EEEEDaS10_S11_EUlS10_E_NS1_11comp_targetILNS1_3genE8ELNS1_11target_archE1030ELNS1_3gpuE2ELNS1_3repE0EEENS1_30default_config_static_selectorELNS0_4arch9wavefront6targetE1EEEvT1_.num_agpr, 0
	.set _ZN7rocprim17ROCPRIM_400000_NS6detail17trampoline_kernelINS0_14default_configENS1_27scan_by_key_config_selectorImiEEZZNS1_16scan_by_key_implILNS1_25lookback_scan_determinismE0ELb0ES3_N6thrust23THRUST_200600_302600_NS18transform_iteratorI9row_indexNS9_17counting_iteratorImNS9_11use_defaultESD_SD_EESD_SD_EENS9_6detail15normal_iteratorINS9_10device_ptrIiEEEESK_iNS9_4plusIvEENS9_8equal_toIvEEiEE10hipError_tPvRmT2_T3_T4_T5_mT6_T7_P12ihipStream_tbENKUlT_T0_E_clISt17integral_constantIbLb1EES14_IbLb0EEEEDaS10_S11_EUlS10_E_NS1_11comp_targetILNS1_3genE8ELNS1_11target_archE1030ELNS1_3gpuE2ELNS1_3repE0EEENS1_30default_config_static_selectorELNS0_4arch9wavefront6targetE1EEEvT1_.numbered_sgpr, 0
	.set _ZN7rocprim17ROCPRIM_400000_NS6detail17trampoline_kernelINS0_14default_configENS1_27scan_by_key_config_selectorImiEEZZNS1_16scan_by_key_implILNS1_25lookback_scan_determinismE0ELb0ES3_N6thrust23THRUST_200600_302600_NS18transform_iteratorI9row_indexNS9_17counting_iteratorImNS9_11use_defaultESD_SD_EESD_SD_EENS9_6detail15normal_iteratorINS9_10device_ptrIiEEEESK_iNS9_4plusIvEENS9_8equal_toIvEEiEE10hipError_tPvRmT2_T3_T4_T5_mT6_T7_P12ihipStream_tbENKUlT_T0_E_clISt17integral_constantIbLb1EES14_IbLb0EEEEDaS10_S11_EUlS10_E_NS1_11comp_targetILNS1_3genE8ELNS1_11target_archE1030ELNS1_3gpuE2ELNS1_3repE0EEENS1_30default_config_static_selectorELNS0_4arch9wavefront6targetE1EEEvT1_.num_named_barrier, 0
	.set _ZN7rocprim17ROCPRIM_400000_NS6detail17trampoline_kernelINS0_14default_configENS1_27scan_by_key_config_selectorImiEEZZNS1_16scan_by_key_implILNS1_25lookback_scan_determinismE0ELb0ES3_N6thrust23THRUST_200600_302600_NS18transform_iteratorI9row_indexNS9_17counting_iteratorImNS9_11use_defaultESD_SD_EESD_SD_EENS9_6detail15normal_iteratorINS9_10device_ptrIiEEEESK_iNS9_4plusIvEENS9_8equal_toIvEEiEE10hipError_tPvRmT2_T3_T4_T5_mT6_T7_P12ihipStream_tbENKUlT_T0_E_clISt17integral_constantIbLb1EES14_IbLb0EEEEDaS10_S11_EUlS10_E_NS1_11comp_targetILNS1_3genE8ELNS1_11target_archE1030ELNS1_3gpuE2ELNS1_3repE0EEENS1_30default_config_static_selectorELNS0_4arch9wavefront6targetE1EEEvT1_.private_seg_size, 0
	.set _ZN7rocprim17ROCPRIM_400000_NS6detail17trampoline_kernelINS0_14default_configENS1_27scan_by_key_config_selectorImiEEZZNS1_16scan_by_key_implILNS1_25lookback_scan_determinismE0ELb0ES3_N6thrust23THRUST_200600_302600_NS18transform_iteratorI9row_indexNS9_17counting_iteratorImNS9_11use_defaultESD_SD_EESD_SD_EENS9_6detail15normal_iteratorINS9_10device_ptrIiEEEESK_iNS9_4plusIvEENS9_8equal_toIvEEiEE10hipError_tPvRmT2_T3_T4_T5_mT6_T7_P12ihipStream_tbENKUlT_T0_E_clISt17integral_constantIbLb1EES14_IbLb0EEEEDaS10_S11_EUlS10_E_NS1_11comp_targetILNS1_3genE8ELNS1_11target_archE1030ELNS1_3gpuE2ELNS1_3repE0EEENS1_30default_config_static_selectorELNS0_4arch9wavefront6targetE1EEEvT1_.uses_vcc, 0
	.set _ZN7rocprim17ROCPRIM_400000_NS6detail17trampoline_kernelINS0_14default_configENS1_27scan_by_key_config_selectorImiEEZZNS1_16scan_by_key_implILNS1_25lookback_scan_determinismE0ELb0ES3_N6thrust23THRUST_200600_302600_NS18transform_iteratorI9row_indexNS9_17counting_iteratorImNS9_11use_defaultESD_SD_EESD_SD_EENS9_6detail15normal_iteratorINS9_10device_ptrIiEEEESK_iNS9_4plusIvEENS9_8equal_toIvEEiEE10hipError_tPvRmT2_T3_T4_T5_mT6_T7_P12ihipStream_tbENKUlT_T0_E_clISt17integral_constantIbLb1EES14_IbLb0EEEEDaS10_S11_EUlS10_E_NS1_11comp_targetILNS1_3genE8ELNS1_11target_archE1030ELNS1_3gpuE2ELNS1_3repE0EEENS1_30default_config_static_selectorELNS0_4arch9wavefront6targetE1EEEvT1_.uses_flat_scratch, 0
	.set _ZN7rocprim17ROCPRIM_400000_NS6detail17trampoline_kernelINS0_14default_configENS1_27scan_by_key_config_selectorImiEEZZNS1_16scan_by_key_implILNS1_25lookback_scan_determinismE0ELb0ES3_N6thrust23THRUST_200600_302600_NS18transform_iteratorI9row_indexNS9_17counting_iteratorImNS9_11use_defaultESD_SD_EESD_SD_EENS9_6detail15normal_iteratorINS9_10device_ptrIiEEEESK_iNS9_4plusIvEENS9_8equal_toIvEEiEE10hipError_tPvRmT2_T3_T4_T5_mT6_T7_P12ihipStream_tbENKUlT_T0_E_clISt17integral_constantIbLb1EES14_IbLb0EEEEDaS10_S11_EUlS10_E_NS1_11comp_targetILNS1_3genE8ELNS1_11target_archE1030ELNS1_3gpuE2ELNS1_3repE0EEENS1_30default_config_static_selectorELNS0_4arch9wavefront6targetE1EEEvT1_.has_dyn_sized_stack, 0
	.set _ZN7rocprim17ROCPRIM_400000_NS6detail17trampoline_kernelINS0_14default_configENS1_27scan_by_key_config_selectorImiEEZZNS1_16scan_by_key_implILNS1_25lookback_scan_determinismE0ELb0ES3_N6thrust23THRUST_200600_302600_NS18transform_iteratorI9row_indexNS9_17counting_iteratorImNS9_11use_defaultESD_SD_EESD_SD_EENS9_6detail15normal_iteratorINS9_10device_ptrIiEEEESK_iNS9_4plusIvEENS9_8equal_toIvEEiEE10hipError_tPvRmT2_T3_T4_T5_mT6_T7_P12ihipStream_tbENKUlT_T0_E_clISt17integral_constantIbLb1EES14_IbLb0EEEEDaS10_S11_EUlS10_E_NS1_11comp_targetILNS1_3genE8ELNS1_11target_archE1030ELNS1_3gpuE2ELNS1_3repE0EEENS1_30default_config_static_selectorELNS0_4arch9wavefront6targetE1EEEvT1_.has_recursion, 0
	.set _ZN7rocprim17ROCPRIM_400000_NS6detail17trampoline_kernelINS0_14default_configENS1_27scan_by_key_config_selectorImiEEZZNS1_16scan_by_key_implILNS1_25lookback_scan_determinismE0ELb0ES3_N6thrust23THRUST_200600_302600_NS18transform_iteratorI9row_indexNS9_17counting_iteratorImNS9_11use_defaultESD_SD_EESD_SD_EENS9_6detail15normal_iteratorINS9_10device_ptrIiEEEESK_iNS9_4plusIvEENS9_8equal_toIvEEiEE10hipError_tPvRmT2_T3_T4_T5_mT6_T7_P12ihipStream_tbENKUlT_T0_E_clISt17integral_constantIbLb1EES14_IbLb0EEEEDaS10_S11_EUlS10_E_NS1_11comp_targetILNS1_3genE8ELNS1_11target_archE1030ELNS1_3gpuE2ELNS1_3repE0EEENS1_30default_config_static_selectorELNS0_4arch9wavefront6targetE1EEEvT1_.has_indirect_call, 0
	.section	.AMDGPU.csdata,"",@progbits
; Kernel info:
; codeLenInByte = 0
; TotalNumSgprs: 4
; NumVgprs: 0
; ScratchSize: 0
; MemoryBound: 0
; FloatMode: 240
; IeeeMode: 1
; LDSByteSize: 0 bytes/workgroup (compile time only)
; SGPRBlocks: 0
; VGPRBlocks: 0
; NumSGPRsForWavesPerEU: 4
; NumVGPRsForWavesPerEU: 1
; Occupancy: 10
; WaveLimiterHint : 0
; COMPUTE_PGM_RSRC2:SCRATCH_EN: 0
; COMPUTE_PGM_RSRC2:USER_SGPR: 6
; COMPUTE_PGM_RSRC2:TRAP_HANDLER: 0
; COMPUTE_PGM_RSRC2:TGID_X_EN: 1
; COMPUTE_PGM_RSRC2:TGID_Y_EN: 0
; COMPUTE_PGM_RSRC2:TGID_Z_EN: 0
; COMPUTE_PGM_RSRC2:TIDIG_COMP_CNT: 0
	.section	.text._ZN7rocprim17ROCPRIM_400000_NS6detail30init_device_scan_by_key_kernelINS1_19lookback_scan_stateINS0_5tupleIJibEEELb0ELb1EEEN6thrust23THRUST_200600_302600_NS18transform_iteratorI9row_indexNS8_17counting_iteratorImNS8_11use_defaultESC_SC_EESC_SC_EEjNS1_16block_id_wrapperIjLb1EEEEEvT_jjPNSH_10value_typeET0_PNSt15iterator_traitsISK_E10value_typeEmT1_T2_,"axG",@progbits,_ZN7rocprim17ROCPRIM_400000_NS6detail30init_device_scan_by_key_kernelINS1_19lookback_scan_stateINS0_5tupleIJibEEELb0ELb1EEEN6thrust23THRUST_200600_302600_NS18transform_iteratorI9row_indexNS8_17counting_iteratorImNS8_11use_defaultESC_SC_EESC_SC_EEjNS1_16block_id_wrapperIjLb1EEEEEvT_jjPNSH_10value_typeET0_PNSt15iterator_traitsISK_E10value_typeEmT1_T2_,comdat
	.protected	_ZN7rocprim17ROCPRIM_400000_NS6detail30init_device_scan_by_key_kernelINS1_19lookback_scan_stateINS0_5tupleIJibEEELb0ELb1EEEN6thrust23THRUST_200600_302600_NS18transform_iteratorI9row_indexNS8_17counting_iteratorImNS8_11use_defaultESC_SC_EESC_SC_EEjNS1_16block_id_wrapperIjLb1EEEEEvT_jjPNSH_10value_typeET0_PNSt15iterator_traitsISK_E10value_typeEmT1_T2_ ; -- Begin function _ZN7rocprim17ROCPRIM_400000_NS6detail30init_device_scan_by_key_kernelINS1_19lookback_scan_stateINS0_5tupleIJibEEELb0ELb1EEEN6thrust23THRUST_200600_302600_NS18transform_iteratorI9row_indexNS8_17counting_iteratorImNS8_11use_defaultESC_SC_EESC_SC_EEjNS1_16block_id_wrapperIjLb1EEEEEvT_jjPNSH_10value_typeET0_PNSt15iterator_traitsISK_E10value_typeEmT1_T2_
	.globl	_ZN7rocprim17ROCPRIM_400000_NS6detail30init_device_scan_by_key_kernelINS1_19lookback_scan_stateINS0_5tupleIJibEEELb0ELb1EEEN6thrust23THRUST_200600_302600_NS18transform_iteratorI9row_indexNS8_17counting_iteratorImNS8_11use_defaultESC_SC_EESC_SC_EEjNS1_16block_id_wrapperIjLb1EEEEEvT_jjPNSH_10value_typeET0_PNSt15iterator_traitsISK_E10value_typeEmT1_T2_
	.p2align	8
	.type	_ZN7rocprim17ROCPRIM_400000_NS6detail30init_device_scan_by_key_kernelINS1_19lookback_scan_stateINS0_5tupleIJibEEELb0ELb1EEEN6thrust23THRUST_200600_302600_NS18transform_iteratorI9row_indexNS8_17counting_iteratorImNS8_11use_defaultESC_SC_EESC_SC_EEjNS1_16block_id_wrapperIjLb1EEEEEvT_jjPNSH_10value_typeET0_PNSt15iterator_traitsISK_E10value_typeEmT1_T2_,@function
_ZN7rocprim17ROCPRIM_400000_NS6detail30init_device_scan_by_key_kernelINS1_19lookback_scan_stateINS0_5tupleIJibEEELb0ELb1EEEN6thrust23THRUST_200600_302600_NS18transform_iteratorI9row_indexNS8_17counting_iteratorImNS8_11use_defaultESC_SC_EESC_SC_EEjNS1_16block_id_wrapperIjLb1EEEEEvT_jjPNSH_10value_typeET0_PNSt15iterator_traitsISK_E10value_typeEmT1_T2_: ; @_ZN7rocprim17ROCPRIM_400000_NS6detail30init_device_scan_by_key_kernelINS1_19lookback_scan_stateINS0_5tupleIJibEEELb0ELb1EEEN6thrust23THRUST_200600_302600_NS18transform_iteratorI9row_indexNS8_17counting_iteratorImNS8_11use_defaultESC_SC_EESC_SC_EEjNS1_16block_id_wrapperIjLb1EEEEEvT_jjPNSH_10value_typeET0_PNSt15iterator_traitsISK_E10value_typeEmT1_T2_
; %bb.0:
	s_load_dword s0, s[4:5], 0x54
	s_load_dwordx8 s[8:15], s[4:5], 0x0
	s_load_dword s18, s[4:5], 0x48
	s_waitcnt lgkmcnt(0)
	s_and_b32 s19, s0, 0xffff
	s_mul_i32 s6, s6, s19
	s_cmp_eq_u64 s[12:13], 0
	v_add_u32_e32 v4, s6, v0
	s_cbranch_scc1 .LBB34_8
; %bb.1:
	s_cmp_lt_u32 s11, s10
	s_cselect_b32 s0, s11, 0
	s_mov_b32 s3, 0
	v_cmp_eq_u32_e32 vcc, s0, v4
	s_and_saveexec_b64 s[0:1], vcc
	s_cbranch_execz .LBB34_7
; %bb.2:
	s_add_i32 s2, s11, 64
	s_lshl_b64 s[2:3], s[2:3], 4
	s_add_u32 s16, s8, s2
	s_addc_u32 s17, s9, s3
	v_mov_b32_e32 v0, s16
	v_mov_b32_e32 v1, s17
	;;#ASMSTART
	global_load_dwordx4 v[0:3], v[0:1] off glc	
s_waitcnt vmcnt(0)
	;;#ASMEND
	v_and_b32_e32 v5, 0xff, v2
	v_mov_b32_e32 v6, 0
	v_cmp_eq_u64_e32 vcc, 0, v[5:6]
	s_mov_b64 s[6:7], 0
	s_and_saveexec_b64 s[2:3], vcc
	s_cbranch_execz .LBB34_6
; %bb.3:
	v_mov_b32_e32 v7, s16
	v_mov_b32_e32 v8, s17
.LBB34_4:                               ; =>This Inner Loop Header: Depth=1
	;;#ASMSTART
	global_load_dwordx4 v[0:3], v[7:8] off glc	
s_waitcnt vmcnt(0)
	;;#ASMEND
	v_and_b32_e32 v5, 0xff, v2
	v_cmp_ne_u64_e32 vcc, 0, v[5:6]
	s_or_b64 s[6:7], vcc, s[6:7]
	s_andn2_b64 exec, exec, s[6:7]
	s_cbranch_execnz .LBB34_4
; %bb.5:
	s_or_b64 exec, exec, s[6:7]
.LBB34_6:
	s_or_b64 exec, exec, s[2:3]
	v_mov_b32_e32 v2, 0
	global_store_dword v2, v0, s[12:13]
	global_store_byte v2, v1, s[12:13] offset:4
.LBB34_7:
	s_or_b64 exec, exec, s[0:1]
.LBB34_8:
	v_cmp_eq_u32_e32 vcc, 0, v4
	s_and_saveexec_b64 s[0:1], vcc
	s_cbranch_execz .LBB34_10
; %bb.9:
	s_load_dwordx2 s[2:3], s[4:5], 0x40
	v_mov_b32_e32 v0, 0
	s_waitcnt lgkmcnt(0)
	global_store_dword v0, v0, s[2:3]
.LBB34_10:
	s_or_b64 exec, exec, s[0:1]
	v_cmp_gt_u32_e32 vcc, s10, v4
	s_and_saveexec_b64 s[0:1], vcc
	s_cbranch_execz .LBB34_12
; %bb.11:
	v_add_u32_e32 v0, 64, v4
	v_mov_b32_e32 v1, 0
	v_lshlrev_b64 v[2:3], 4, v[0:1]
	v_mov_b32_e32 v0, s9
	v_add_co_u32_e32 v5, vcc, s8, v2
	v_addc_co_u32_e32 v6, vcc, v0, v3, vcc
	v_mov_b32_e32 v0, v1
	v_mov_b32_e32 v2, v1
	v_mov_b32_e32 v3, v1
	global_store_dwordx4 v[5:6], v[0:3], off
.LBB34_12:
	s_or_b64 exec, exec, s[0:1]
	v_cmp_gt_u32_e32 vcc, 64, v4
	v_mov_b32_e32 v5, 0
	s_and_saveexec_b64 s[0:1], vcc
	s_cbranch_execz .LBB34_14
; %bb.13:
	v_lshlrev_b64 v[0:1], 4, v[4:5]
	v_mov_b32_e32 v2, s9
	v_add_co_u32_e32 v6, vcc, s8, v0
	v_addc_co_u32_e32 v7, vcc, v2, v1, vcc
	v_mov_b32_e32 v2, 0xff
	v_mov_b32_e32 v0, v5
	;; [unrolled: 1-line block ×4, first 2 shown]
	global_store_dwordx4 v[6:7], v[0:3], off
.LBB34_14:
	s_or_b64 exec, exec, s[0:1]
	s_load_dwordx2 s[2:3], s[4:5], 0x30
	s_waitcnt lgkmcnt(0)
	v_cmp_gt_u64_e32 vcc, s[2:3], v[4:5]
	s_and_saveexec_b64 s[0:1], vcc
	s_cbranch_execz .LBB34_21
; %bb.15:
	s_load_dword s6, s[4:5], 0x38
	s_load_dwordx4 s[8:11], s[4:5], 0x20
	v_lshlrev_b64 v[2:3], 3, v[4:5]
	s_mul_i32 s4, s18, s19
	s_mov_b32 s5, 0
	s_waitcnt lgkmcnt(0)
	s_add_i32 s0, s6, -1
	v_cvt_f32_u32_e32 v6, s8
	v_cvt_f32_u32_e32 v7, s9
	s_add_u32 s0, s0, s14
	s_addc_u32 s1, 0, s15
	v_mov_b32_e32 v0, s0
	v_madmk_f32 v6, v7, 0x4f800000, v6
	v_rcp_f32_e32 v6, v6
	v_mov_b32_e32 v1, s1
	v_mad_u64_u32 v[0:1], s[0:1], s6, v4, v[0:1]
	v_mul_f32_e32 v6, 0x5f7ffffc, v6
	v_mul_f32_e32 v7, 0x2f800000, v6
	v_trunc_f32_e32 v7, v7
	v_madmk_f32 v6, v7, 0xcf800000, v6
	v_cvt_u32_f32_e32 v9, v6
	v_cvt_u32_f32_e32 v10, v7
	v_mov_b32_e32 v8, s11
	v_add_co_u32_e32 v2, vcc, s10, v2
	s_mul_hi_u32 s14, s6, s4
	s_mul_i32 s15, s6, s4
	v_addc_co_u32_e32 v3, vcc, v8, v3, vcc
	s_lshl_b64 s[6:7], s[4:5], 3
	s_mov_b64 s[10:11], 0
	v_mov_b32_e32 v6, 0
	s_branch .LBB34_17
.LBB34_16:                              ;   in Loop: Header=BB34_17 Depth=1
	s_or_b64 exec, exec, s[0:1]
	v_add_co_u32_e32 v4, vcc, s4, v4
	v_addc_co_u32_e32 v5, vcc, 0, v5, vcc
	global_store_dwordx2 v[2:3], v[7:8], off
	v_mov_b32_e32 v7, s14
	v_add_co_u32_e32 v0, vcc, s15, v0
	v_addc_co_u32_e32 v1, vcc, v1, v7, vcc
	v_cmp_le_u64_e32 vcc, s[2:3], v[4:5]
	v_mov_b32_e32 v7, s7
	s_or_b64 s[10:11], vcc, s[10:11]
	v_add_co_u32_e32 v2, vcc, s6, v2
	v_addc_co_u32_e32 v3, vcc, v3, v7, vcc
	s_andn2_b64 exec, exec, s[10:11]
	s_cbranch_execz .LBB34_21
.LBB34_17:                              ; =>This Inner Loop Header: Depth=1
	v_or_b32_e32 v7, s9, v1
	v_cmp_ne_u64_e32 vcc, 0, v[6:7]
                                        ; implicit-def: $vgpr7_vgpr8
	s_and_saveexec_b64 s[0:1], vcc
	s_xor_b64 s[12:13], exec, s[0:1]
	s_cbranch_execz .LBB34_19
; %bb.18:                               ;   in Loop: Header=BB34_17 Depth=1
	s_sub_u32 s5, 0, s8
	v_readfirstlane_b32 s0, v9
	v_readfirstlane_b32 s18, v10
	s_subb_u32 s16, 0, s9
	s_mul_hi_u32 s17, s5, s0
	s_mul_i32 s19, s5, s18
	s_mul_i32 s1, s16, s0
	s_add_i32 s17, s17, s19
	s_add_i32 s17, s17, s1
	s_mul_i32 s20, s5, s0
	s_mul_i32 s19, s0, s17
	s_mul_hi_u32 s21, s0, s20
	s_mul_hi_u32 s1, s0, s17
	s_add_u32 s19, s21, s19
	s_addc_u32 s1, 0, s1
	s_mul_hi_u32 s22, s18, s20
	s_mul_i32 s20, s18, s20
	s_add_u32 s19, s19, s20
	s_mul_hi_u32 s21, s18, s17
	s_addc_u32 s1, s1, s22
	s_addc_u32 s19, s21, 0
	s_mul_i32 s17, s18, s17
	s_add_u32 s1, s1, s17
	s_addc_u32 s17, 0, s19
	s_add_u32 s19, s0, s1
	s_cselect_b64 s[0:1], -1, 0
	s_cmp_lg_u64 s[0:1], 0
	s_addc_u32 s17, s18, s17
	s_mul_i32 s0, s5, s17
	s_mul_hi_u32 s1, s5, s19
	s_add_i32 s0, s1, s0
	s_mul_i32 s16, s16, s19
	s_add_i32 s0, s0, s16
	s_mul_i32 s5, s5, s19
	s_mul_hi_u32 s16, s17, s5
	s_mul_i32 s18, s17, s5
	s_mul_i32 s21, s19, s0
	s_mul_hi_u32 s5, s19, s5
	s_mul_hi_u32 s20, s19, s0
	s_add_u32 s5, s5, s21
	s_addc_u32 s20, 0, s20
	s_add_u32 s5, s5, s18
	s_mul_hi_u32 s1, s17, s0
	s_addc_u32 s5, s20, s16
	s_addc_u32 s1, s1, 0
	s_mul_i32 s0, s17, s0
	s_add_u32 s0, s5, s0
	s_addc_u32 s5, 0, s1
	s_add_u32 s16, s19, s0
	s_cselect_b64 s[0:1], -1, 0
	s_cmp_lg_u64 s[0:1], 0
	s_addc_u32 s5, s17, s5
	v_mad_u64_u32 v[7:8], s[0:1], v0, s5, 0
	v_mul_hi_u32 v11, v0, s16
	v_add_co_u32_e32 v13, vcc, v11, v7
	v_addc_co_u32_e32 v14, vcc, 0, v8, vcc
	v_mad_u64_u32 v[7:8], s[0:1], v1, s16, 0
	v_mad_u64_u32 v[11:12], s[0:1], v1, s5, 0
	v_add_co_u32_e32 v7, vcc, v13, v7
	v_addc_co_u32_e32 v7, vcc, v14, v8, vcc
	v_addc_co_u32_e32 v8, vcc, 0, v12, vcc
	v_add_co_u32_e32 v11, vcc, v7, v11
	v_addc_co_u32_e32 v12, vcc, 0, v8, vcc
	v_mul_lo_u32 v13, s9, v11
	v_mul_lo_u32 v14, s8, v12
	v_mad_u64_u32 v[7:8], s[0:1], s8, v11, 0
	v_add3_u32 v8, v8, v14, v13
	v_sub_u32_e32 v13, v1, v8
	v_mov_b32_e32 v14, s9
	v_sub_co_u32_e32 v7, vcc, v0, v7
	v_subb_co_u32_e64 v13, s[0:1], v13, v14, vcc
	v_subrev_co_u32_e64 v14, s[0:1], s8, v7
	v_subbrev_co_u32_e64 v13, s[0:1], 0, v13, s[0:1]
	v_cmp_le_u32_e64 s[0:1], s9, v13
	v_cndmask_b32_e64 v15, 0, -1, s[0:1]
	v_cmp_le_u32_e64 s[0:1], s8, v14
	v_cndmask_b32_e64 v14, 0, -1, s[0:1]
	v_cmp_eq_u32_e64 s[0:1], s9, v13
	v_cndmask_b32_e64 v13, v15, v14, s[0:1]
	v_add_co_u32_e64 v14, s[0:1], 2, v11
	v_addc_co_u32_e64 v15, s[0:1], 0, v12, s[0:1]
	v_add_co_u32_e64 v16, s[0:1], 1, v11
	v_addc_co_u32_e64 v17, s[0:1], 0, v12, s[0:1]
	v_subb_co_u32_e32 v8, vcc, v1, v8, vcc
	v_cmp_ne_u32_e64 s[0:1], 0, v13
	v_cmp_le_u32_e32 vcc, s9, v8
	v_cndmask_b32_e64 v13, v17, v15, s[0:1]
	v_cndmask_b32_e64 v15, 0, -1, vcc
	v_cmp_le_u32_e32 vcc, s8, v7
	v_cndmask_b32_e64 v7, 0, -1, vcc
	v_cmp_eq_u32_e32 vcc, s9, v8
	v_cndmask_b32_e32 v7, v15, v7, vcc
	v_cmp_ne_u32_e32 vcc, 0, v7
	v_cndmask_b32_e64 v7, v16, v14, s[0:1]
	v_cndmask_b32_e32 v8, v12, v13, vcc
	v_cndmask_b32_e32 v7, v11, v7, vcc
.LBB34_19:                              ;   in Loop: Header=BB34_17 Depth=1
	s_andn2_saveexec_b64 s[0:1], s[12:13]
	s_cbranch_execz .LBB34_16
; %bb.20:                               ;   in Loop: Header=BB34_17 Depth=1
	v_cvt_f32_u32_e32 v7, s8
	s_sub_i32 s5, 0, s8
	v_rcp_iflag_f32_e32 v7, v7
	v_mul_f32_e32 v7, 0x4f7ffffe, v7
	v_cvt_u32_f32_e32 v7, v7
	v_mul_lo_u32 v8, s5, v7
	v_mul_hi_u32 v8, v7, v8
	v_add_u32_e32 v7, v7, v8
	v_mul_hi_u32 v7, v0, v7
	v_mul_lo_u32 v8, v7, s8
	v_add_u32_e32 v11, 1, v7
	v_sub_u32_e32 v8, v0, v8
	v_subrev_u32_e32 v12, s8, v8
	v_cmp_le_u32_e32 vcc, s8, v8
	v_cndmask_b32_e32 v8, v8, v12, vcc
	v_cndmask_b32_e32 v7, v7, v11, vcc
	v_add_u32_e32 v11, 1, v7
	v_cmp_le_u32_e32 vcc, s8, v8
	v_cndmask_b32_e32 v7, v7, v11, vcc
	v_mov_b32_e32 v8, v6
	s_branch .LBB34_16
.LBB34_21:
	s_endpgm
	.section	.rodata,"a",@progbits
	.p2align	6, 0x0
	.amdhsa_kernel _ZN7rocprim17ROCPRIM_400000_NS6detail30init_device_scan_by_key_kernelINS1_19lookback_scan_stateINS0_5tupleIJibEEELb0ELb1EEEN6thrust23THRUST_200600_302600_NS18transform_iteratorI9row_indexNS8_17counting_iteratorImNS8_11use_defaultESC_SC_EESC_SC_EEjNS1_16block_id_wrapperIjLb1EEEEEvT_jjPNSH_10value_typeET0_PNSt15iterator_traitsISK_E10value_typeEmT1_T2_
		.amdhsa_group_segment_fixed_size 0
		.amdhsa_private_segment_fixed_size 0
		.amdhsa_kernarg_size 328
		.amdhsa_user_sgpr_count 6
		.amdhsa_user_sgpr_private_segment_buffer 1
		.amdhsa_user_sgpr_dispatch_ptr 0
		.amdhsa_user_sgpr_queue_ptr 0
		.amdhsa_user_sgpr_kernarg_segment_ptr 1
		.amdhsa_user_sgpr_dispatch_id 0
		.amdhsa_user_sgpr_flat_scratch_init 0
		.amdhsa_user_sgpr_private_segment_size 0
		.amdhsa_uses_dynamic_stack 0
		.amdhsa_system_sgpr_private_segment_wavefront_offset 0
		.amdhsa_system_sgpr_workgroup_id_x 1
		.amdhsa_system_sgpr_workgroup_id_y 0
		.amdhsa_system_sgpr_workgroup_id_z 0
		.amdhsa_system_sgpr_workgroup_info 0
		.amdhsa_system_vgpr_workitem_id 0
		.amdhsa_next_free_vgpr 18
		.amdhsa_next_free_sgpr 23
		.amdhsa_reserve_vcc 1
		.amdhsa_reserve_flat_scratch 0
		.amdhsa_float_round_mode_32 0
		.amdhsa_float_round_mode_16_64 0
		.amdhsa_float_denorm_mode_32 3
		.amdhsa_float_denorm_mode_16_64 3
		.amdhsa_dx10_clamp 1
		.amdhsa_ieee_mode 1
		.amdhsa_fp16_overflow 0
		.amdhsa_exception_fp_ieee_invalid_op 0
		.amdhsa_exception_fp_denorm_src 0
		.amdhsa_exception_fp_ieee_div_zero 0
		.amdhsa_exception_fp_ieee_overflow 0
		.amdhsa_exception_fp_ieee_underflow 0
		.amdhsa_exception_fp_ieee_inexact 0
		.amdhsa_exception_int_div_zero 0
	.end_amdhsa_kernel
	.section	.text._ZN7rocprim17ROCPRIM_400000_NS6detail30init_device_scan_by_key_kernelINS1_19lookback_scan_stateINS0_5tupleIJibEEELb0ELb1EEEN6thrust23THRUST_200600_302600_NS18transform_iteratorI9row_indexNS8_17counting_iteratorImNS8_11use_defaultESC_SC_EESC_SC_EEjNS1_16block_id_wrapperIjLb1EEEEEvT_jjPNSH_10value_typeET0_PNSt15iterator_traitsISK_E10value_typeEmT1_T2_,"axG",@progbits,_ZN7rocprim17ROCPRIM_400000_NS6detail30init_device_scan_by_key_kernelINS1_19lookback_scan_stateINS0_5tupleIJibEEELb0ELb1EEEN6thrust23THRUST_200600_302600_NS18transform_iteratorI9row_indexNS8_17counting_iteratorImNS8_11use_defaultESC_SC_EESC_SC_EEjNS1_16block_id_wrapperIjLb1EEEEEvT_jjPNSH_10value_typeET0_PNSt15iterator_traitsISK_E10value_typeEmT1_T2_,comdat
.Lfunc_end34:
	.size	_ZN7rocprim17ROCPRIM_400000_NS6detail30init_device_scan_by_key_kernelINS1_19lookback_scan_stateINS0_5tupleIJibEEELb0ELb1EEEN6thrust23THRUST_200600_302600_NS18transform_iteratorI9row_indexNS8_17counting_iteratorImNS8_11use_defaultESC_SC_EESC_SC_EEjNS1_16block_id_wrapperIjLb1EEEEEvT_jjPNSH_10value_typeET0_PNSt15iterator_traitsISK_E10value_typeEmT1_T2_, .Lfunc_end34-_ZN7rocprim17ROCPRIM_400000_NS6detail30init_device_scan_by_key_kernelINS1_19lookback_scan_stateINS0_5tupleIJibEEELb0ELb1EEEN6thrust23THRUST_200600_302600_NS18transform_iteratorI9row_indexNS8_17counting_iteratorImNS8_11use_defaultESC_SC_EESC_SC_EEjNS1_16block_id_wrapperIjLb1EEEEEvT_jjPNSH_10value_typeET0_PNSt15iterator_traitsISK_E10value_typeEmT1_T2_
                                        ; -- End function
	.set _ZN7rocprim17ROCPRIM_400000_NS6detail30init_device_scan_by_key_kernelINS1_19lookback_scan_stateINS0_5tupleIJibEEELb0ELb1EEEN6thrust23THRUST_200600_302600_NS18transform_iteratorI9row_indexNS8_17counting_iteratorImNS8_11use_defaultESC_SC_EESC_SC_EEjNS1_16block_id_wrapperIjLb1EEEEEvT_jjPNSH_10value_typeET0_PNSt15iterator_traitsISK_E10value_typeEmT1_T2_.num_vgpr, 18
	.set _ZN7rocprim17ROCPRIM_400000_NS6detail30init_device_scan_by_key_kernelINS1_19lookback_scan_stateINS0_5tupleIJibEEELb0ELb1EEEN6thrust23THRUST_200600_302600_NS18transform_iteratorI9row_indexNS8_17counting_iteratorImNS8_11use_defaultESC_SC_EESC_SC_EEjNS1_16block_id_wrapperIjLb1EEEEEvT_jjPNSH_10value_typeET0_PNSt15iterator_traitsISK_E10value_typeEmT1_T2_.num_agpr, 0
	.set _ZN7rocprim17ROCPRIM_400000_NS6detail30init_device_scan_by_key_kernelINS1_19lookback_scan_stateINS0_5tupleIJibEEELb0ELb1EEEN6thrust23THRUST_200600_302600_NS18transform_iteratorI9row_indexNS8_17counting_iteratorImNS8_11use_defaultESC_SC_EESC_SC_EEjNS1_16block_id_wrapperIjLb1EEEEEvT_jjPNSH_10value_typeET0_PNSt15iterator_traitsISK_E10value_typeEmT1_T2_.numbered_sgpr, 23
	.set _ZN7rocprim17ROCPRIM_400000_NS6detail30init_device_scan_by_key_kernelINS1_19lookback_scan_stateINS0_5tupleIJibEEELb0ELb1EEEN6thrust23THRUST_200600_302600_NS18transform_iteratorI9row_indexNS8_17counting_iteratorImNS8_11use_defaultESC_SC_EESC_SC_EEjNS1_16block_id_wrapperIjLb1EEEEEvT_jjPNSH_10value_typeET0_PNSt15iterator_traitsISK_E10value_typeEmT1_T2_.num_named_barrier, 0
	.set _ZN7rocprim17ROCPRIM_400000_NS6detail30init_device_scan_by_key_kernelINS1_19lookback_scan_stateINS0_5tupleIJibEEELb0ELb1EEEN6thrust23THRUST_200600_302600_NS18transform_iteratorI9row_indexNS8_17counting_iteratorImNS8_11use_defaultESC_SC_EESC_SC_EEjNS1_16block_id_wrapperIjLb1EEEEEvT_jjPNSH_10value_typeET0_PNSt15iterator_traitsISK_E10value_typeEmT1_T2_.private_seg_size, 0
	.set _ZN7rocprim17ROCPRIM_400000_NS6detail30init_device_scan_by_key_kernelINS1_19lookback_scan_stateINS0_5tupleIJibEEELb0ELb1EEEN6thrust23THRUST_200600_302600_NS18transform_iteratorI9row_indexNS8_17counting_iteratorImNS8_11use_defaultESC_SC_EESC_SC_EEjNS1_16block_id_wrapperIjLb1EEEEEvT_jjPNSH_10value_typeET0_PNSt15iterator_traitsISK_E10value_typeEmT1_T2_.uses_vcc, 1
	.set _ZN7rocprim17ROCPRIM_400000_NS6detail30init_device_scan_by_key_kernelINS1_19lookback_scan_stateINS0_5tupleIJibEEELb0ELb1EEEN6thrust23THRUST_200600_302600_NS18transform_iteratorI9row_indexNS8_17counting_iteratorImNS8_11use_defaultESC_SC_EESC_SC_EEjNS1_16block_id_wrapperIjLb1EEEEEvT_jjPNSH_10value_typeET0_PNSt15iterator_traitsISK_E10value_typeEmT1_T2_.uses_flat_scratch, 0
	.set _ZN7rocprim17ROCPRIM_400000_NS6detail30init_device_scan_by_key_kernelINS1_19lookback_scan_stateINS0_5tupleIJibEEELb0ELb1EEEN6thrust23THRUST_200600_302600_NS18transform_iteratorI9row_indexNS8_17counting_iteratorImNS8_11use_defaultESC_SC_EESC_SC_EEjNS1_16block_id_wrapperIjLb1EEEEEvT_jjPNSH_10value_typeET0_PNSt15iterator_traitsISK_E10value_typeEmT1_T2_.has_dyn_sized_stack, 0
	.set _ZN7rocprim17ROCPRIM_400000_NS6detail30init_device_scan_by_key_kernelINS1_19lookback_scan_stateINS0_5tupleIJibEEELb0ELb1EEEN6thrust23THRUST_200600_302600_NS18transform_iteratorI9row_indexNS8_17counting_iteratorImNS8_11use_defaultESC_SC_EESC_SC_EEjNS1_16block_id_wrapperIjLb1EEEEEvT_jjPNSH_10value_typeET0_PNSt15iterator_traitsISK_E10value_typeEmT1_T2_.has_recursion, 0
	.set _ZN7rocprim17ROCPRIM_400000_NS6detail30init_device_scan_by_key_kernelINS1_19lookback_scan_stateINS0_5tupleIJibEEELb0ELb1EEEN6thrust23THRUST_200600_302600_NS18transform_iteratorI9row_indexNS8_17counting_iteratorImNS8_11use_defaultESC_SC_EESC_SC_EEjNS1_16block_id_wrapperIjLb1EEEEEvT_jjPNSH_10value_typeET0_PNSt15iterator_traitsISK_E10value_typeEmT1_T2_.has_indirect_call, 0
	.section	.AMDGPU.csdata,"",@progbits
; Kernel info:
; codeLenInByte = 1268
; TotalNumSgprs: 27
; NumVgprs: 18
; ScratchSize: 0
; MemoryBound: 0
; FloatMode: 240
; IeeeMode: 1
; LDSByteSize: 0 bytes/workgroup (compile time only)
; SGPRBlocks: 3
; VGPRBlocks: 4
; NumSGPRsForWavesPerEU: 27
; NumVGPRsForWavesPerEU: 18
; Occupancy: 10
; WaveLimiterHint : 0
; COMPUTE_PGM_RSRC2:SCRATCH_EN: 0
; COMPUTE_PGM_RSRC2:USER_SGPR: 6
; COMPUTE_PGM_RSRC2:TRAP_HANDLER: 0
; COMPUTE_PGM_RSRC2:TGID_X_EN: 1
; COMPUTE_PGM_RSRC2:TGID_Y_EN: 0
; COMPUTE_PGM_RSRC2:TGID_Z_EN: 0
; COMPUTE_PGM_RSRC2:TIDIG_COMP_CNT: 0
	.section	.text._ZN7rocprim17ROCPRIM_400000_NS6detail30init_device_scan_by_key_kernelINS1_19lookback_scan_stateINS0_5tupleIJibEEELb0ELb1EEENS1_16block_id_wrapperIjLb1EEEEEvT_jjPNS9_10value_typeET0_,"axG",@progbits,_ZN7rocprim17ROCPRIM_400000_NS6detail30init_device_scan_by_key_kernelINS1_19lookback_scan_stateINS0_5tupleIJibEEELb0ELb1EEENS1_16block_id_wrapperIjLb1EEEEEvT_jjPNS9_10value_typeET0_,comdat
	.protected	_ZN7rocprim17ROCPRIM_400000_NS6detail30init_device_scan_by_key_kernelINS1_19lookback_scan_stateINS0_5tupleIJibEEELb0ELb1EEENS1_16block_id_wrapperIjLb1EEEEEvT_jjPNS9_10value_typeET0_ ; -- Begin function _ZN7rocprim17ROCPRIM_400000_NS6detail30init_device_scan_by_key_kernelINS1_19lookback_scan_stateINS0_5tupleIJibEEELb0ELb1EEENS1_16block_id_wrapperIjLb1EEEEEvT_jjPNS9_10value_typeET0_
	.globl	_ZN7rocprim17ROCPRIM_400000_NS6detail30init_device_scan_by_key_kernelINS1_19lookback_scan_stateINS0_5tupleIJibEEELb0ELb1EEENS1_16block_id_wrapperIjLb1EEEEEvT_jjPNS9_10value_typeET0_
	.p2align	8
	.type	_ZN7rocprim17ROCPRIM_400000_NS6detail30init_device_scan_by_key_kernelINS1_19lookback_scan_stateINS0_5tupleIJibEEELb0ELb1EEENS1_16block_id_wrapperIjLb1EEEEEvT_jjPNS9_10value_typeET0_,@function
_ZN7rocprim17ROCPRIM_400000_NS6detail30init_device_scan_by_key_kernelINS1_19lookback_scan_stateINS0_5tupleIJibEEELb0ELb1EEENS1_16block_id_wrapperIjLb1EEEEEvT_jjPNS9_10value_typeET0_: ; @_ZN7rocprim17ROCPRIM_400000_NS6detail30init_device_scan_by_key_kernelINS1_19lookback_scan_stateINS0_5tupleIJibEEELb0ELb1EEENS1_16block_id_wrapperIjLb1EEEEEvT_jjPNS9_10value_typeET0_
; %bb.0:
	s_load_dword s0, s[4:5], 0x2c
	s_load_dwordx8 s[8:15], s[4:5], 0x0
	s_waitcnt lgkmcnt(0)
	s_and_b32 s0, s0, 0xffff
	s_mul_i32 s6, s6, s0
	s_cmp_eq_u64 s[12:13], 0
	v_add_u32_e32 v0, s6, v0
	s_cbranch_scc1 .LBB35_8
; %bb.1:
	s_cmp_lt_u32 s11, s10
	s_cselect_b32 s0, s11, 0
	s_mov_b32 s3, 0
	v_cmp_eq_u32_e32 vcc, s0, v0
	s_and_saveexec_b64 s[0:1], vcc
	s_cbranch_execz .LBB35_7
; %bb.2:
	s_add_i32 s2, s11, 64
	s_lshl_b64 s[2:3], s[2:3], 4
	s_add_u32 s6, s8, s2
	s_addc_u32 s7, s9, s3
	v_mov_b32_e32 v1, s6
	v_mov_b32_e32 v2, s7
	;;#ASMSTART
	global_load_dwordx4 v[1:4], v[1:2] off glc	
s_waitcnt vmcnt(0)
	;;#ASMEND
	v_and_b32_e32 v4, 0xff, v3
	v_mov_b32_e32 v5, 0
	v_cmp_eq_u64_e32 vcc, 0, v[4:5]
	s_mov_b64 s[4:5], 0
	s_and_saveexec_b64 s[2:3], vcc
	s_cbranch_execz .LBB35_6
; %bb.3:
	v_mov_b32_e32 v6, s6
	v_mov_b32_e32 v7, s7
.LBB35_4:                               ; =>This Inner Loop Header: Depth=1
	;;#ASMSTART
	global_load_dwordx4 v[1:4], v[6:7] off glc	
s_waitcnt vmcnt(0)
	;;#ASMEND
	v_and_b32_e32 v4, 0xff, v3
	v_cmp_ne_u64_e32 vcc, 0, v[4:5]
	s_or_b64 s[4:5], vcc, s[4:5]
	s_andn2_b64 exec, exec, s[4:5]
	s_cbranch_execnz .LBB35_4
; %bb.5:
	s_or_b64 exec, exec, s[4:5]
.LBB35_6:
	s_or_b64 exec, exec, s[2:3]
	v_mov_b32_e32 v3, 0
	global_store_dword v3, v1, s[12:13]
	global_store_byte v3, v2, s[12:13] offset:4
.LBB35_7:
	s_or_b64 exec, exec, s[0:1]
.LBB35_8:
	v_cmp_eq_u32_e32 vcc, 0, v0
	s_and_saveexec_b64 s[0:1], vcc
	s_cbranch_execnz .LBB35_12
; %bb.9:
	s_or_b64 exec, exec, s[0:1]
	v_cmp_gt_u32_e32 vcc, s10, v0
	s_and_saveexec_b64 s[0:1], vcc
	s_cbranch_execnz .LBB35_13
.LBB35_10:
	s_or_b64 exec, exec, s[0:1]
	v_cmp_gt_u32_e32 vcc, 64, v0
	s_and_saveexec_b64 s[0:1], vcc
	s_cbranch_execnz .LBB35_14
.LBB35_11:
	s_endpgm
.LBB35_12:
	v_mov_b32_e32 v1, 0
	global_store_dword v1, v1, s[14:15]
	s_or_b64 exec, exec, s[0:1]
	v_cmp_gt_u32_e32 vcc, s10, v0
	s_and_saveexec_b64 s[0:1], vcc
	s_cbranch_execz .LBB35_10
.LBB35_13:
	v_add_u32_e32 v1, 64, v0
	v_mov_b32_e32 v2, 0
	v_lshlrev_b64 v[3:4], 4, v[1:2]
	v_mov_b32_e32 v1, s9
	v_add_co_u32_e32 v5, vcc, s8, v3
	v_addc_co_u32_e32 v6, vcc, v1, v4, vcc
	v_mov_b32_e32 v1, v2
	v_mov_b32_e32 v3, v2
	;; [unrolled: 1-line block ×3, first 2 shown]
	global_store_dwordx4 v[5:6], v[1:4], off
	s_or_b64 exec, exec, s[0:1]
	v_cmp_gt_u32_e32 vcc, 64, v0
	s_and_saveexec_b64 s[0:1], vcc
	s_cbranch_execz .LBB35_11
.LBB35_14:
	v_mov_b32_e32 v1, 0
	v_lshlrev_b64 v[2:3], 4, v[0:1]
	v_mov_b32_e32 v0, s9
	v_add_co_u32_e32 v4, vcc, s8, v2
	v_addc_co_u32_e32 v5, vcc, v0, v3, vcc
	v_mov_b32_e32 v2, 0xff
	v_mov_b32_e32 v0, v1
	;; [unrolled: 1-line block ×3, first 2 shown]
	global_store_dwordx4 v[4:5], v[0:3], off
	s_endpgm
	.section	.rodata,"a",@progbits
	.p2align	6, 0x0
	.amdhsa_kernel _ZN7rocprim17ROCPRIM_400000_NS6detail30init_device_scan_by_key_kernelINS1_19lookback_scan_stateINS0_5tupleIJibEEELb0ELb1EEENS1_16block_id_wrapperIjLb1EEEEEvT_jjPNS9_10value_typeET0_
		.amdhsa_group_segment_fixed_size 0
		.amdhsa_private_segment_fixed_size 0
		.amdhsa_kernarg_size 288
		.amdhsa_user_sgpr_count 6
		.amdhsa_user_sgpr_private_segment_buffer 1
		.amdhsa_user_sgpr_dispatch_ptr 0
		.amdhsa_user_sgpr_queue_ptr 0
		.amdhsa_user_sgpr_kernarg_segment_ptr 1
		.amdhsa_user_sgpr_dispatch_id 0
		.amdhsa_user_sgpr_flat_scratch_init 0
		.amdhsa_user_sgpr_private_segment_size 0
		.amdhsa_uses_dynamic_stack 0
		.amdhsa_system_sgpr_private_segment_wavefront_offset 0
		.amdhsa_system_sgpr_workgroup_id_x 1
		.amdhsa_system_sgpr_workgroup_id_y 0
		.amdhsa_system_sgpr_workgroup_id_z 0
		.amdhsa_system_sgpr_workgroup_info 0
		.amdhsa_system_vgpr_workitem_id 0
		.amdhsa_next_free_vgpr 8
		.amdhsa_next_free_sgpr 16
		.amdhsa_reserve_vcc 1
		.amdhsa_reserve_flat_scratch 0
		.amdhsa_float_round_mode_32 0
		.amdhsa_float_round_mode_16_64 0
		.amdhsa_float_denorm_mode_32 3
		.amdhsa_float_denorm_mode_16_64 3
		.amdhsa_dx10_clamp 1
		.amdhsa_ieee_mode 1
		.amdhsa_fp16_overflow 0
		.amdhsa_exception_fp_ieee_invalid_op 0
		.amdhsa_exception_fp_denorm_src 0
		.amdhsa_exception_fp_ieee_div_zero 0
		.amdhsa_exception_fp_ieee_overflow 0
		.amdhsa_exception_fp_ieee_underflow 0
		.amdhsa_exception_fp_ieee_inexact 0
		.amdhsa_exception_int_div_zero 0
	.end_amdhsa_kernel
	.section	.text._ZN7rocprim17ROCPRIM_400000_NS6detail30init_device_scan_by_key_kernelINS1_19lookback_scan_stateINS0_5tupleIJibEEELb0ELb1EEENS1_16block_id_wrapperIjLb1EEEEEvT_jjPNS9_10value_typeET0_,"axG",@progbits,_ZN7rocprim17ROCPRIM_400000_NS6detail30init_device_scan_by_key_kernelINS1_19lookback_scan_stateINS0_5tupleIJibEEELb0ELb1EEENS1_16block_id_wrapperIjLb1EEEEEvT_jjPNS9_10value_typeET0_,comdat
.Lfunc_end35:
	.size	_ZN7rocprim17ROCPRIM_400000_NS6detail30init_device_scan_by_key_kernelINS1_19lookback_scan_stateINS0_5tupleIJibEEELb0ELb1EEENS1_16block_id_wrapperIjLb1EEEEEvT_jjPNS9_10value_typeET0_, .Lfunc_end35-_ZN7rocprim17ROCPRIM_400000_NS6detail30init_device_scan_by_key_kernelINS1_19lookback_scan_stateINS0_5tupleIJibEEELb0ELb1EEENS1_16block_id_wrapperIjLb1EEEEEvT_jjPNS9_10value_typeET0_
                                        ; -- End function
	.set _ZN7rocprim17ROCPRIM_400000_NS6detail30init_device_scan_by_key_kernelINS1_19lookback_scan_stateINS0_5tupleIJibEEELb0ELb1EEENS1_16block_id_wrapperIjLb1EEEEEvT_jjPNS9_10value_typeET0_.num_vgpr, 8
	.set _ZN7rocprim17ROCPRIM_400000_NS6detail30init_device_scan_by_key_kernelINS1_19lookback_scan_stateINS0_5tupleIJibEEELb0ELb1EEENS1_16block_id_wrapperIjLb1EEEEEvT_jjPNS9_10value_typeET0_.num_agpr, 0
	.set _ZN7rocprim17ROCPRIM_400000_NS6detail30init_device_scan_by_key_kernelINS1_19lookback_scan_stateINS0_5tupleIJibEEELb0ELb1EEENS1_16block_id_wrapperIjLb1EEEEEvT_jjPNS9_10value_typeET0_.numbered_sgpr, 16
	.set _ZN7rocprim17ROCPRIM_400000_NS6detail30init_device_scan_by_key_kernelINS1_19lookback_scan_stateINS0_5tupleIJibEEELb0ELb1EEENS1_16block_id_wrapperIjLb1EEEEEvT_jjPNS9_10value_typeET0_.num_named_barrier, 0
	.set _ZN7rocprim17ROCPRIM_400000_NS6detail30init_device_scan_by_key_kernelINS1_19lookback_scan_stateINS0_5tupleIJibEEELb0ELb1EEENS1_16block_id_wrapperIjLb1EEEEEvT_jjPNS9_10value_typeET0_.private_seg_size, 0
	.set _ZN7rocprim17ROCPRIM_400000_NS6detail30init_device_scan_by_key_kernelINS1_19lookback_scan_stateINS0_5tupleIJibEEELb0ELb1EEENS1_16block_id_wrapperIjLb1EEEEEvT_jjPNS9_10value_typeET0_.uses_vcc, 1
	.set _ZN7rocprim17ROCPRIM_400000_NS6detail30init_device_scan_by_key_kernelINS1_19lookback_scan_stateINS0_5tupleIJibEEELb0ELb1EEENS1_16block_id_wrapperIjLb1EEEEEvT_jjPNS9_10value_typeET0_.uses_flat_scratch, 0
	.set _ZN7rocprim17ROCPRIM_400000_NS6detail30init_device_scan_by_key_kernelINS1_19lookback_scan_stateINS0_5tupleIJibEEELb0ELb1EEENS1_16block_id_wrapperIjLb1EEEEEvT_jjPNS9_10value_typeET0_.has_dyn_sized_stack, 0
	.set _ZN7rocprim17ROCPRIM_400000_NS6detail30init_device_scan_by_key_kernelINS1_19lookback_scan_stateINS0_5tupleIJibEEELb0ELb1EEENS1_16block_id_wrapperIjLb1EEEEEvT_jjPNS9_10value_typeET0_.has_recursion, 0
	.set _ZN7rocprim17ROCPRIM_400000_NS6detail30init_device_scan_by_key_kernelINS1_19lookback_scan_stateINS0_5tupleIJibEEELb0ELb1EEENS1_16block_id_wrapperIjLb1EEEEEvT_jjPNS9_10value_typeET0_.has_indirect_call, 0
	.section	.AMDGPU.csdata,"",@progbits
; Kernel info:
; codeLenInByte = 408
; TotalNumSgprs: 20
; NumVgprs: 8
; ScratchSize: 0
; MemoryBound: 0
; FloatMode: 240
; IeeeMode: 1
; LDSByteSize: 0 bytes/workgroup (compile time only)
; SGPRBlocks: 2
; VGPRBlocks: 1
; NumSGPRsForWavesPerEU: 20
; NumVGPRsForWavesPerEU: 8
; Occupancy: 10
; WaveLimiterHint : 0
; COMPUTE_PGM_RSRC2:SCRATCH_EN: 0
; COMPUTE_PGM_RSRC2:USER_SGPR: 6
; COMPUTE_PGM_RSRC2:TRAP_HANDLER: 0
; COMPUTE_PGM_RSRC2:TGID_X_EN: 1
; COMPUTE_PGM_RSRC2:TGID_Y_EN: 0
; COMPUTE_PGM_RSRC2:TGID_Z_EN: 0
; COMPUTE_PGM_RSRC2:TIDIG_COMP_CNT: 0
	.section	.text._ZN7rocprim17ROCPRIM_400000_NS6detail17trampoline_kernelINS0_14default_configENS1_27scan_by_key_config_selectorImiEEZZNS1_16scan_by_key_implILNS1_25lookback_scan_determinismE0ELb0ES3_N6thrust23THRUST_200600_302600_NS18transform_iteratorI9row_indexNS9_17counting_iteratorImNS9_11use_defaultESD_SD_EESD_SD_EENS9_6detail15normal_iteratorINS9_10device_ptrIiEEEESK_iNS9_4plusIvEENS9_8equal_toIvEEiEE10hipError_tPvRmT2_T3_T4_T5_mT6_T7_P12ihipStream_tbENKUlT_T0_E_clISt17integral_constantIbLb0EES14_IbLb1EEEEDaS10_S11_EUlS10_E_NS1_11comp_targetILNS1_3genE0ELNS1_11target_archE4294967295ELNS1_3gpuE0ELNS1_3repE0EEENS1_30default_config_static_selectorELNS0_4arch9wavefront6targetE1EEEvT1_,"axG",@progbits,_ZN7rocprim17ROCPRIM_400000_NS6detail17trampoline_kernelINS0_14default_configENS1_27scan_by_key_config_selectorImiEEZZNS1_16scan_by_key_implILNS1_25lookback_scan_determinismE0ELb0ES3_N6thrust23THRUST_200600_302600_NS18transform_iteratorI9row_indexNS9_17counting_iteratorImNS9_11use_defaultESD_SD_EESD_SD_EENS9_6detail15normal_iteratorINS9_10device_ptrIiEEEESK_iNS9_4plusIvEENS9_8equal_toIvEEiEE10hipError_tPvRmT2_T3_T4_T5_mT6_T7_P12ihipStream_tbENKUlT_T0_E_clISt17integral_constantIbLb0EES14_IbLb1EEEEDaS10_S11_EUlS10_E_NS1_11comp_targetILNS1_3genE0ELNS1_11target_archE4294967295ELNS1_3gpuE0ELNS1_3repE0EEENS1_30default_config_static_selectorELNS0_4arch9wavefront6targetE1EEEvT1_,comdat
	.protected	_ZN7rocprim17ROCPRIM_400000_NS6detail17trampoline_kernelINS0_14default_configENS1_27scan_by_key_config_selectorImiEEZZNS1_16scan_by_key_implILNS1_25lookback_scan_determinismE0ELb0ES3_N6thrust23THRUST_200600_302600_NS18transform_iteratorI9row_indexNS9_17counting_iteratorImNS9_11use_defaultESD_SD_EESD_SD_EENS9_6detail15normal_iteratorINS9_10device_ptrIiEEEESK_iNS9_4plusIvEENS9_8equal_toIvEEiEE10hipError_tPvRmT2_T3_T4_T5_mT6_T7_P12ihipStream_tbENKUlT_T0_E_clISt17integral_constantIbLb0EES14_IbLb1EEEEDaS10_S11_EUlS10_E_NS1_11comp_targetILNS1_3genE0ELNS1_11target_archE4294967295ELNS1_3gpuE0ELNS1_3repE0EEENS1_30default_config_static_selectorELNS0_4arch9wavefront6targetE1EEEvT1_ ; -- Begin function _ZN7rocprim17ROCPRIM_400000_NS6detail17trampoline_kernelINS0_14default_configENS1_27scan_by_key_config_selectorImiEEZZNS1_16scan_by_key_implILNS1_25lookback_scan_determinismE0ELb0ES3_N6thrust23THRUST_200600_302600_NS18transform_iteratorI9row_indexNS9_17counting_iteratorImNS9_11use_defaultESD_SD_EESD_SD_EENS9_6detail15normal_iteratorINS9_10device_ptrIiEEEESK_iNS9_4plusIvEENS9_8equal_toIvEEiEE10hipError_tPvRmT2_T3_T4_T5_mT6_T7_P12ihipStream_tbENKUlT_T0_E_clISt17integral_constantIbLb0EES14_IbLb1EEEEDaS10_S11_EUlS10_E_NS1_11comp_targetILNS1_3genE0ELNS1_11target_archE4294967295ELNS1_3gpuE0ELNS1_3repE0EEENS1_30default_config_static_selectorELNS0_4arch9wavefront6targetE1EEEvT1_
	.globl	_ZN7rocprim17ROCPRIM_400000_NS6detail17trampoline_kernelINS0_14default_configENS1_27scan_by_key_config_selectorImiEEZZNS1_16scan_by_key_implILNS1_25lookback_scan_determinismE0ELb0ES3_N6thrust23THRUST_200600_302600_NS18transform_iteratorI9row_indexNS9_17counting_iteratorImNS9_11use_defaultESD_SD_EESD_SD_EENS9_6detail15normal_iteratorINS9_10device_ptrIiEEEESK_iNS9_4plusIvEENS9_8equal_toIvEEiEE10hipError_tPvRmT2_T3_T4_T5_mT6_T7_P12ihipStream_tbENKUlT_T0_E_clISt17integral_constantIbLb0EES14_IbLb1EEEEDaS10_S11_EUlS10_E_NS1_11comp_targetILNS1_3genE0ELNS1_11target_archE4294967295ELNS1_3gpuE0ELNS1_3repE0EEENS1_30default_config_static_selectorELNS0_4arch9wavefront6targetE1EEEvT1_
	.p2align	8
	.type	_ZN7rocprim17ROCPRIM_400000_NS6detail17trampoline_kernelINS0_14default_configENS1_27scan_by_key_config_selectorImiEEZZNS1_16scan_by_key_implILNS1_25lookback_scan_determinismE0ELb0ES3_N6thrust23THRUST_200600_302600_NS18transform_iteratorI9row_indexNS9_17counting_iteratorImNS9_11use_defaultESD_SD_EESD_SD_EENS9_6detail15normal_iteratorINS9_10device_ptrIiEEEESK_iNS9_4plusIvEENS9_8equal_toIvEEiEE10hipError_tPvRmT2_T3_T4_T5_mT6_T7_P12ihipStream_tbENKUlT_T0_E_clISt17integral_constantIbLb0EES14_IbLb1EEEEDaS10_S11_EUlS10_E_NS1_11comp_targetILNS1_3genE0ELNS1_11target_archE4294967295ELNS1_3gpuE0ELNS1_3repE0EEENS1_30default_config_static_selectorELNS0_4arch9wavefront6targetE1EEEvT1_,@function
_ZN7rocprim17ROCPRIM_400000_NS6detail17trampoline_kernelINS0_14default_configENS1_27scan_by_key_config_selectorImiEEZZNS1_16scan_by_key_implILNS1_25lookback_scan_determinismE0ELb0ES3_N6thrust23THRUST_200600_302600_NS18transform_iteratorI9row_indexNS9_17counting_iteratorImNS9_11use_defaultESD_SD_EESD_SD_EENS9_6detail15normal_iteratorINS9_10device_ptrIiEEEESK_iNS9_4plusIvEENS9_8equal_toIvEEiEE10hipError_tPvRmT2_T3_T4_T5_mT6_T7_P12ihipStream_tbENKUlT_T0_E_clISt17integral_constantIbLb0EES14_IbLb1EEEEDaS10_S11_EUlS10_E_NS1_11comp_targetILNS1_3genE0ELNS1_11target_archE4294967295ELNS1_3gpuE0ELNS1_3repE0EEENS1_30default_config_static_selectorELNS0_4arch9wavefront6targetE1EEEvT1_: ; @_ZN7rocprim17ROCPRIM_400000_NS6detail17trampoline_kernelINS0_14default_configENS1_27scan_by_key_config_selectorImiEEZZNS1_16scan_by_key_implILNS1_25lookback_scan_determinismE0ELb0ES3_N6thrust23THRUST_200600_302600_NS18transform_iteratorI9row_indexNS9_17counting_iteratorImNS9_11use_defaultESD_SD_EESD_SD_EENS9_6detail15normal_iteratorINS9_10device_ptrIiEEEESK_iNS9_4plusIvEENS9_8equal_toIvEEiEE10hipError_tPvRmT2_T3_T4_T5_mT6_T7_P12ihipStream_tbENKUlT_T0_E_clISt17integral_constantIbLb0EES14_IbLb1EEEEDaS10_S11_EUlS10_E_NS1_11comp_targetILNS1_3genE0ELNS1_11target_archE4294967295ELNS1_3gpuE0ELNS1_3repE0EEENS1_30default_config_static_selectorELNS0_4arch9wavefront6targetE1EEEvT1_
; %bb.0:
	.section	.rodata,"a",@progbits
	.p2align	6, 0x0
	.amdhsa_kernel _ZN7rocprim17ROCPRIM_400000_NS6detail17trampoline_kernelINS0_14default_configENS1_27scan_by_key_config_selectorImiEEZZNS1_16scan_by_key_implILNS1_25lookback_scan_determinismE0ELb0ES3_N6thrust23THRUST_200600_302600_NS18transform_iteratorI9row_indexNS9_17counting_iteratorImNS9_11use_defaultESD_SD_EESD_SD_EENS9_6detail15normal_iteratorINS9_10device_ptrIiEEEESK_iNS9_4plusIvEENS9_8equal_toIvEEiEE10hipError_tPvRmT2_T3_T4_T5_mT6_T7_P12ihipStream_tbENKUlT_T0_E_clISt17integral_constantIbLb0EES14_IbLb1EEEEDaS10_S11_EUlS10_E_NS1_11comp_targetILNS1_3genE0ELNS1_11target_archE4294967295ELNS1_3gpuE0ELNS1_3repE0EEENS1_30default_config_static_selectorELNS0_4arch9wavefront6targetE1EEEvT1_
		.amdhsa_group_segment_fixed_size 0
		.amdhsa_private_segment_fixed_size 0
		.amdhsa_kernarg_size 120
		.amdhsa_user_sgpr_count 6
		.amdhsa_user_sgpr_private_segment_buffer 1
		.amdhsa_user_sgpr_dispatch_ptr 0
		.amdhsa_user_sgpr_queue_ptr 0
		.amdhsa_user_sgpr_kernarg_segment_ptr 1
		.amdhsa_user_sgpr_dispatch_id 0
		.amdhsa_user_sgpr_flat_scratch_init 0
		.amdhsa_user_sgpr_private_segment_size 0
		.amdhsa_uses_dynamic_stack 0
		.amdhsa_system_sgpr_private_segment_wavefront_offset 0
		.amdhsa_system_sgpr_workgroup_id_x 1
		.amdhsa_system_sgpr_workgroup_id_y 0
		.amdhsa_system_sgpr_workgroup_id_z 0
		.amdhsa_system_sgpr_workgroup_info 0
		.amdhsa_system_vgpr_workitem_id 0
		.amdhsa_next_free_vgpr 1
		.amdhsa_next_free_sgpr 0
		.amdhsa_reserve_vcc 0
		.amdhsa_reserve_flat_scratch 0
		.amdhsa_float_round_mode_32 0
		.amdhsa_float_round_mode_16_64 0
		.amdhsa_float_denorm_mode_32 3
		.amdhsa_float_denorm_mode_16_64 3
		.amdhsa_dx10_clamp 1
		.amdhsa_ieee_mode 1
		.amdhsa_fp16_overflow 0
		.amdhsa_exception_fp_ieee_invalid_op 0
		.amdhsa_exception_fp_denorm_src 0
		.amdhsa_exception_fp_ieee_div_zero 0
		.amdhsa_exception_fp_ieee_overflow 0
		.amdhsa_exception_fp_ieee_underflow 0
		.amdhsa_exception_fp_ieee_inexact 0
		.amdhsa_exception_int_div_zero 0
	.end_amdhsa_kernel
	.section	.text._ZN7rocprim17ROCPRIM_400000_NS6detail17trampoline_kernelINS0_14default_configENS1_27scan_by_key_config_selectorImiEEZZNS1_16scan_by_key_implILNS1_25lookback_scan_determinismE0ELb0ES3_N6thrust23THRUST_200600_302600_NS18transform_iteratorI9row_indexNS9_17counting_iteratorImNS9_11use_defaultESD_SD_EESD_SD_EENS9_6detail15normal_iteratorINS9_10device_ptrIiEEEESK_iNS9_4plusIvEENS9_8equal_toIvEEiEE10hipError_tPvRmT2_T3_T4_T5_mT6_T7_P12ihipStream_tbENKUlT_T0_E_clISt17integral_constantIbLb0EES14_IbLb1EEEEDaS10_S11_EUlS10_E_NS1_11comp_targetILNS1_3genE0ELNS1_11target_archE4294967295ELNS1_3gpuE0ELNS1_3repE0EEENS1_30default_config_static_selectorELNS0_4arch9wavefront6targetE1EEEvT1_,"axG",@progbits,_ZN7rocprim17ROCPRIM_400000_NS6detail17trampoline_kernelINS0_14default_configENS1_27scan_by_key_config_selectorImiEEZZNS1_16scan_by_key_implILNS1_25lookback_scan_determinismE0ELb0ES3_N6thrust23THRUST_200600_302600_NS18transform_iteratorI9row_indexNS9_17counting_iteratorImNS9_11use_defaultESD_SD_EESD_SD_EENS9_6detail15normal_iteratorINS9_10device_ptrIiEEEESK_iNS9_4plusIvEENS9_8equal_toIvEEiEE10hipError_tPvRmT2_T3_T4_T5_mT6_T7_P12ihipStream_tbENKUlT_T0_E_clISt17integral_constantIbLb0EES14_IbLb1EEEEDaS10_S11_EUlS10_E_NS1_11comp_targetILNS1_3genE0ELNS1_11target_archE4294967295ELNS1_3gpuE0ELNS1_3repE0EEENS1_30default_config_static_selectorELNS0_4arch9wavefront6targetE1EEEvT1_,comdat
.Lfunc_end36:
	.size	_ZN7rocprim17ROCPRIM_400000_NS6detail17trampoline_kernelINS0_14default_configENS1_27scan_by_key_config_selectorImiEEZZNS1_16scan_by_key_implILNS1_25lookback_scan_determinismE0ELb0ES3_N6thrust23THRUST_200600_302600_NS18transform_iteratorI9row_indexNS9_17counting_iteratorImNS9_11use_defaultESD_SD_EESD_SD_EENS9_6detail15normal_iteratorINS9_10device_ptrIiEEEESK_iNS9_4plusIvEENS9_8equal_toIvEEiEE10hipError_tPvRmT2_T3_T4_T5_mT6_T7_P12ihipStream_tbENKUlT_T0_E_clISt17integral_constantIbLb0EES14_IbLb1EEEEDaS10_S11_EUlS10_E_NS1_11comp_targetILNS1_3genE0ELNS1_11target_archE4294967295ELNS1_3gpuE0ELNS1_3repE0EEENS1_30default_config_static_selectorELNS0_4arch9wavefront6targetE1EEEvT1_, .Lfunc_end36-_ZN7rocprim17ROCPRIM_400000_NS6detail17trampoline_kernelINS0_14default_configENS1_27scan_by_key_config_selectorImiEEZZNS1_16scan_by_key_implILNS1_25lookback_scan_determinismE0ELb0ES3_N6thrust23THRUST_200600_302600_NS18transform_iteratorI9row_indexNS9_17counting_iteratorImNS9_11use_defaultESD_SD_EESD_SD_EENS9_6detail15normal_iteratorINS9_10device_ptrIiEEEESK_iNS9_4plusIvEENS9_8equal_toIvEEiEE10hipError_tPvRmT2_T3_T4_T5_mT6_T7_P12ihipStream_tbENKUlT_T0_E_clISt17integral_constantIbLb0EES14_IbLb1EEEEDaS10_S11_EUlS10_E_NS1_11comp_targetILNS1_3genE0ELNS1_11target_archE4294967295ELNS1_3gpuE0ELNS1_3repE0EEENS1_30default_config_static_selectorELNS0_4arch9wavefront6targetE1EEEvT1_
                                        ; -- End function
	.set _ZN7rocprim17ROCPRIM_400000_NS6detail17trampoline_kernelINS0_14default_configENS1_27scan_by_key_config_selectorImiEEZZNS1_16scan_by_key_implILNS1_25lookback_scan_determinismE0ELb0ES3_N6thrust23THRUST_200600_302600_NS18transform_iteratorI9row_indexNS9_17counting_iteratorImNS9_11use_defaultESD_SD_EESD_SD_EENS9_6detail15normal_iteratorINS9_10device_ptrIiEEEESK_iNS9_4plusIvEENS9_8equal_toIvEEiEE10hipError_tPvRmT2_T3_T4_T5_mT6_T7_P12ihipStream_tbENKUlT_T0_E_clISt17integral_constantIbLb0EES14_IbLb1EEEEDaS10_S11_EUlS10_E_NS1_11comp_targetILNS1_3genE0ELNS1_11target_archE4294967295ELNS1_3gpuE0ELNS1_3repE0EEENS1_30default_config_static_selectorELNS0_4arch9wavefront6targetE1EEEvT1_.num_vgpr, 0
	.set _ZN7rocprim17ROCPRIM_400000_NS6detail17trampoline_kernelINS0_14default_configENS1_27scan_by_key_config_selectorImiEEZZNS1_16scan_by_key_implILNS1_25lookback_scan_determinismE0ELb0ES3_N6thrust23THRUST_200600_302600_NS18transform_iteratorI9row_indexNS9_17counting_iteratorImNS9_11use_defaultESD_SD_EESD_SD_EENS9_6detail15normal_iteratorINS9_10device_ptrIiEEEESK_iNS9_4plusIvEENS9_8equal_toIvEEiEE10hipError_tPvRmT2_T3_T4_T5_mT6_T7_P12ihipStream_tbENKUlT_T0_E_clISt17integral_constantIbLb0EES14_IbLb1EEEEDaS10_S11_EUlS10_E_NS1_11comp_targetILNS1_3genE0ELNS1_11target_archE4294967295ELNS1_3gpuE0ELNS1_3repE0EEENS1_30default_config_static_selectorELNS0_4arch9wavefront6targetE1EEEvT1_.num_agpr, 0
	.set _ZN7rocprim17ROCPRIM_400000_NS6detail17trampoline_kernelINS0_14default_configENS1_27scan_by_key_config_selectorImiEEZZNS1_16scan_by_key_implILNS1_25lookback_scan_determinismE0ELb0ES3_N6thrust23THRUST_200600_302600_NS18transform_iteratorI9row_indexNS9_17counting_iteratorImNS9_11use_defaultESD_SD_EESD_SD_EENS9_6detail15normal_iteratorINS9_10device_ptrIiEEEESK_iNS9_4plusIvEENS9_8equal_toIvEEiEE10hipError_tPvRmT2_T3_T4_T5_mT6_T7_P12ihipStream_tbENKUlT_T0_E_clISt17integral_constantIbLb0EES14_IbLb1EEEEDaS10_S11_EUlS10_E_NS1_11comp_targetILNS1_3genE0ELNS1_11target_archE4294967295ELNS1_3gpuE0ELNS1_3repE0EEENS1_30default_config_static_selectorELNS0_4arch9wavefront6targetE1EEEvT1_.numbered_sgpr, 0
	.set _ZN7rocprim17ROCPRIM_400000_NS6detail17trampoline_kernelINS0_14default_configENS1_27scan_by_key_config_selectorImiEEZZNS1_16scan_by_key_implILNS1_25lookback_scan_determinismE0ELb0ES3_N6thrust23THRUST_200600_302600_NS18transform_iteratorI9row_indexNS9_17counting_iteratorImNS9_11use_defaultESD_SD_EESD_SD_EENS9_6detail15normal_iteratorINS9_10device_ptrIiEEEESK_iNS9_4plusIvEENS9_8equal_toIvEEiEE10hipError_tPvRmT2_T3_T4_T5_mT6_T7_P12ihipStream_tbENKUlT_T0_E_clISt17integral_constantIbLb0EES14_IbLb1EEEEDaS10_S11_EUlS10_E_NS1_11comp_targetILNS1_3genE0ELNS1_11target_archE4294967295ELNS1_3gpuE0ELNS1_3repE0EEENS1_30default_config_static_selectorELNS0_4arch9wavefront6targetE1EEEvT1_.num_named_barrier, 0
	.set _ZN7rocprim17ROCPRIM_400000_NS6detail17trampoline_kernelINS0_14default_configENS1_27scan_by_key_config_selectorImiEEZZNS1_16scan_by_key_implILNS1_25lookback_scan_determinismE0ELb0ES3_N6thrust23THRUST_200600_302600_NS18transform_iteratorI9row_indexNS9_17counting_iteratorImNS9_11use_defaultESD_SD_EESD_SD_EENS9_6detail15normal_iteratorINS9_10device_ptrIiEEEESK_iNS9_4plusIvEENS9_8equal_toIvEEiEE10hipError_tPvRmT2_T3_T4_T5_mT6_T7_P12ihipStream_tbENKUlT_T0_E_clISt17integral_constantIbLb0EES14_IbLb1EEEEDaS10_S11_EUlS10_E_NS1_11comp_targetILNS1_3genE0ELNS1_11target_archE4294967295ELNS1_3gpuE0ELNS1_3repE0EEENS1_30default_config_static_selectorELNS0_4arch9wavefront6targetE1EEEvT1_.private_seg_size, 0
	.set _ZN7rocprim17ROCPRIM_400000_NS6detail17trampoline_kernelINS0_14default_configENS1_27scan_by_key_config_selectorImiEEZZNS1_16scan_by_key_implILNS1_25lookback_scan_determinismE0ELb0ES3_N6thrust23THRUST_200600_302600_NS18transform_iteratorI9row_indexNS9_17counting_iteratorImNS9_11use_defaultESD_SD_EESD_SD_EENS9_6detail15normal_iteratorINS9_10device_ptrIiEEEESK_iNS9_4plusIvEENS9_8equal_toIvEEiEE10hipError_tPvRmT2_T3_T4_T5_mT6_T7_P12ihipStream_tbENKUlT_T0_E_clISt17integral_constantIbLb0EES14_IbLb1EEEEDaS10_S11_EUlS10_E_NS1_11comp_targetILNS1_3genE0ELNS1_11target_archE4294967295ELNS1_3gpuE0ELNS1_3repE0EEENS1_30default_config_static_selectorELNS0_4arch9wavefront6targetE1EEEvT1_.uses_vcc, 0
	.set _ZN7rocprim17ROCPRIM_400000_NS6detail17trampoline_kernelINS0_14default_configENS1_27scan_by_key_config_selectorImiEEZZNS1_16scan_by_key_implILNS1_25lookback_scan_determinismE0ELb0ES3_N6thrust23THRUST_200600_302600_NS18transform_iteratorI9row_indexNS9_17counting_iteratorImNS9_11use_defaultESD_SD_EESD_SD_EENS9_6detail15normal_iteratorINS9_10device_ptrIiEEEESK_iNS9_4plusIvEENS9_8equal_toIvEEiEE10hipError_tPvRmT2_T3_T4_T5_mT6_T7_P12ihipStream_tbENKUlT_T0_E_clISt17integral_constantIbLb0EES14_IbLb1EEEEDaS10_S11_EUlS10_E_NS1_11comp_targetILNS1_3genE0ELNS1_11target_archE4294967295ELNS1_3gpuE0ELNS1_3repE0EEENS1_30default_config_static_selectorELNS0_4arch9wavefront6targetE1EEEvT1_.uses_flat_scratch, 0
	.set _ZN7rocprim17ROCPRIM_400000_NS6detail17trampoline_kernelINS0_14default_configENS1_27scan_by_key_config_selectorImiEEZZNS1_16scan_by_key_implILNS1_25lookback_scan_determinismE0ELb0ES3_N6thrust23THRUST_200600_302600_NS18transform_iteratorI9row_indexNS9_17counting_iteratorImNS9_11use_defaultESD_SD_EESD_SD_EENS9_6detail15normal_iteratorINS9_10device_ptrIiEEEESK_iNS9_4plusIvEENS9_8equal_toIvEEiEE10hipError_tPvRmT2_T3_T4_T5_mT6_T7_P12ihipStream_tbENKUlT_T0_E_clISt17integral_constantIbLb0EES14_IbLb1EEEEDaS10_S11_EUlS10_E_NS1_11comp_targetILNS1_3genE0ELNS1_11target_archE4294967295ELNS1_3gpuE0ELNS1_3repE0EEENS1_30default_config_static_selectorELNS0_4arch9wavefront6targetE1EEEvT1_.has_dyn_sized_stack, 0
	.set _ZN7rocprim17ROCPRIM_400000_NS6detail17trampoline_kernelINS0_14default_configENS1_27scan_by_key_config_selectorImiEEZZNS1_16scan_by_key_implILNS1_25lookback_scan_determinismE0ELb0ES3_N6thrust23THRUST_200600_302600_NS18transform_iteratorI9row_indexNS9_17counting_iteratorImNS9_11use_defaultESD_SD_EESD_SD_EENS9_6detail15normal_iteratorINS9_10device_ptrIiEEEESK_iNS9_4plusIvEENS9_8equal_toIvEEiEE10hipError_tPvRmT2_T3_T4_T5_mT6_T7_P12ihipStream_tbENKUlT_T0_E_clISt17integral_constantIbLb0EES14_IbLb1EEEEDaS10_S11_EUlS10_E_NS1_11comp_targetILNS1_3genE0ELNS1_11target_archE4294967295ELNS1_3gpuE0ELNS1_3repE0EEENS1_30default_config_static_selectorELNS0_4arch9wavefront6targetE1EEEvT1_.has_recursion, 0
	.set _ZN7rocprim17ROCPRIM_400000_NS6detail17trampoline_kernelINS0_14default_configENS1_27scan_by_key_config_selectorImiEEZZNS1_16scan_by_key_implILNS1_25lookback_scan_determinismE0ELb0ES3_N6thrust23THRUST_200600_302600_NS18transform_iteratorI9row_indexNS9_17counting_iteratorImNS9_11use_defaultESD_SD_EESD_SD_EENS9_6detail15normal_iteratorINS9_10device_ptrIiEEEESK_iNS9_4plusIvEENS9_8equal_toIvEEiEE10hipError_tPvRmT2_T3_T4_T5_mT6_T7_P12ihipStream_tbENKUlT_T0_E_clISt17integral_constantIbLb0EES14_IbLb1EEEEDaS10_S11_EUlS10_E_NS1_11comp_targetILNS1_3genE0ELNS1_11target_archE4294967295ELNS1_3gpuE0ELNS1_3repE0EEENS1_30default_config_static_selectorELNS0_4arch9wavefront6targetE1EEEvT1_.has_indirect_call, 0
	.section	.AMDGPU.csdata,"",@progbits
; Kernel info:
; codeLenInByte = 0
; TotalNumSgprs: 4
; NumVgprs: 0
; ScratchSize: 0
; MemoryBound: 0
; FloatMode: 240
; IeeeMode: 1
; LDSByteSize: 0 bytes/workgroup (compile time only)
; SGPRBlocks: 0
; VGPRBlocks: 0
; NumSGPRsForWavesPerEU: 4
; NumVGPRsForWavesPerEU: 1
; Occupancy: 10
; WaveLimiterHint : 0
; COMPUTE_PGM_RSRC2:SCRATCH_EN: 0
; COMPUTE_PGM_RSRC2:USER_SGPR: 6
; COMPUTE_PGM_RSRC2:TRAP_HANDLER: 0
; COMPUTE_PGM_RSRC2:TGID_X_EN: 1
; COMPUTE_PGM_RSRC2:TGID_Y_EN: 0
; COMPUTE_PGM_RSRC2:TGID_Z_EN: 0
; COMPUTE_PGM_RSRC2:TIDIG_COMP_CNT: 0
	.section	.text._ZN7rocprim17ROCPRIM_400000_NS6detail17trampoline_kernelINS0_14default_configENS1_27scan_by_key_config_selectorImiEEZZNS1_16scan_by_key_implILNS1_25lookback_scan_determinismE0ELb0ES3_N6thrust23THRUST_200600_302600_NS18transform_iteratorI9row_indexNS9_17counting_iteratorImNS9_11use_defaultESD_SD_EESD_SD_EENS9_6detail15normal_iteratorINS9_10device_ptrIiEEEESK_iNS9_4plusIvEENS9_8equal_toIvEEiEE10hipError_tPvRmT2_T3_T4_T5_mT6_T7_P12ihipStream_tbENKUlT_T0_E_clISt17integral_constantIbLb0EES14_IbLb1EEEEDaS10_S11_EUlS10_E_NS1_11comp_targetILNS1_3genE10ELNS1_11target_archE1201ELNS1_3gpuE5ELNS1_3repE0EEENS1_30default_config_static_selectorELNS0_4arch9wavefront6targetE1EEEvT1_,"axG",@progbits,_ZN7rocprim17ROCPRIM_400000_NS6detail17trampoline_kernelINS0_14default_configENS1_27scan_by_key_config_selectorImiEEZZNS1_16scan_by_key_implILNS1_25lookback_scan_determinismE0ELb0ES3_N6thrust23THRUST_200600_302600_NS18transform_iteratorI9row_indexNS9_17counting_iteratorImNS9_11use_defaultESD_SD_EESD_SD_EENS9_6detail15normal_iteratorINS9_10device_ptrIiEEEESK_iNS9_4plusIvEENS9_8equal_toIvEEiEE10hipError_tPvRmT2_T3_T4_T5_mT6_T7_P12ihipStream_tbENKUlT_T0_E_clISt17integral_constantIbLb0EES14_IbLb1EEEEDaS10_S11_EUlS10_E_NS1_11comp_targetILNS1_3genE10ELNS1_11target_archE1201ELNS1_3gpuE5ELNS1_3repE0EEENS1_30default_config_static_selectorELNS0_4arch9wavefront6targetE1EEEvT1_,comdat
	.protected	_ZN7rocprim17ROCPRIM_400000_NS6detail17trampoline_kernelINS0_14default_configENS1_27scan_by_key_config_selectorImiEEZZNS1_16scan_by_key_implILNS1_25lookback_scan_determinismE0ELb0ES3_N6thrust23THRUST_200600_302600_NS18transform_iteratorI9row_indexNS9_17counting_iteratorImNS9_11use_defaultESD_SD_EESD_SD_EENS9_6detail15normal_iteratorINS9_10device_ptrIiEEEESK_iNS9_4plusIvEENS9_8equal_toIvEEiEE10hipError_tPvRmT2_T3_T4_T5_mT6_T7_P12ihipStream_tbENKUlT_T0_E_clISt17integral_constantIbLb0EES14_IbLb1EEEEDaS10_S11_EUlS10_E_NS1_11comp_targetILNS1_3genE10ELNS1_11target_archE1201ELNS1_3gpuE5ELNS1_3repE0EEENS1_30default_config_static_selectorELNS0_4arch9wavefront6targetE1EEEvT1_ ; -- Begin function _ZN7rocprim17ROCPRIM_400000_NS6detail17trampoline_kernelINS0_14default_configENS1_27scan_by_key_config_selectorImiEEZZNS1_16scan_by_key_implILNS1_25lookback_scan_determinismE0ELb0ES3_N6thrust23THRUST_200600_302600_NS18transform_iteratorI9row_indexNS9_17counting_iteratorImNS9_11use_defaultESD_SD_EESD_SD_EENS9_6detail15normal_iteratorINS9_10device_ptrIiEEEESK_iNS9_4plusIvEENS9_8equal_toIvEEiEE10hipError_tPvRmT2_T3_T4_T5_mT6_T7_P12ihipStream_tbENKUlT_T0_E_clISt17integral_constantIbLb0EES14_IbLb1EEEEDaS10_S11_EUlS10_E_NS1_11comp_targetILNS1_3genE10ELNS1_11target_archE1201ELNS1_3gpuE5ELNS1_3repE0EEENS1_30default_config_static_selectorELNS0_4arch9wavefront6targetE1EEEvT1_
	.globl	_ZN7rocprim17ROCPRIM_400000_NS6detail17trampoline_kernelINS0_14default_configENS1_27scan_by_key_config_selectorImiEEZZNS1_16scan_by_key_implILNS1_25lookback_scan_determinismE0ELb0ES3_N6thrust23THRUST_200600_302600_NS18transform_iteratorI9row_indexNS9_17counting_iteratorImNS9_11use_defaultESD_SD_EESD_SD_EENS9_6detail15normal_iteratorINS9_10device_ptrIiEEEESK_iNS9_4plusIvEENS9_8equal_toIvEEiEE10hipError_tPvRmT2_T3_T4_T5_mT6_T7_P12ihipStream_tbENKUlT_T0_E_clISt17integral_constantIbLb0EES14_IbLb1EEEEDaS10_S11_EUlS10_E_NS1_11comp_targetILNS1_3genE10ELNS1_11target_archE1201ELNS1_3gpuE5ELNS1_3repE0EEENS1_30default_config_static_selectorELNS0_4arch9wavefront6targetE1EEEvT1_
	.p2align	8
	.type	_ZN7rocprim17ROCPRIM_400000_NS6detail17trampoline_kernelINS0_14default_configENS1_27scan_by_key_config_selectorImiEEZZNS1_16scan_by_key_implILNS1_25lookback_scan_determinismE0ELb0ES3_N6thrust23THRUST_200600_302600_NS18transform_iteratorI9row_indexNS9_17counting_iteratorImNS9_11use_defaultESD_SD_EESD_SD_EENS9_6detail15normal_iteratorINS9_10device_ptrIiEEEESK_iNS9_4plusIvEENS9_8equal_toIvEEiEE10hipError_tPvRmT2_T3_T4_T5_mT6_T7_P12ihipStream_tbENKUlT_T0_E_clISt17integral_constantIbLb0EES14_IbLb1EEEEDaS10_S11_EUlS10_E_NS1_11comp_targetILNS1_3genE10ELNS1_11target_archE1201ELNS1_3gpuE5ELNS1_3repE0EEENS1_30default_config_static_selectorELNS0_4arch9wavefront6targetE1EEEvT1_,@function
_ZN7rocprim17ROCPRIM_400000_NS6detail17trampoline_kernelINS0_14default_configENS1_27scan_by_key_config_selectorImiEEZZNS1_16scan_by_key_implILNS1_25lookback_scan_determinismE0ELb0ES3_N6thrust23THRUST_200600_302600_NS18transform_iteratorI9row_indexNS9_17counting_iteratorImNS9_11use_defaultESD_SD_EESD_SD_EENS9_6detail15normal_iteratorINS9_10device_ptrIiEEEESK_iNS9_4plusIvEENS9_8equal_toIvEEiEE10hipError_tPvRmT2_T3_T4_T5_mT6_T7_P12ihipStream_tbENKUlT_T0_E_clISt17integral_constantIbLb0EES14_IbLb1EEEEDaS10_S11_EUlS10_E_NS1_11comp_targetILNS1_3genE10ELNS1_11target_archE1201ELNS1_3gpuE5ELNS1_3repE0EEENS1_30default_config_static_selectorELNS0_4arch9wavefront6targetE1EEEvT1_: ; @_ZN7rocprim17ROCPRIM_400000_NS6detail17trampoline_kernelINS0_14default_configENS1_27scan_by_key_config_selectorImiEEZZNS1_16scan_by_key_implILNS1_25lookback_scan_determinismE0ELb0ES3_N6thrust23THRUST_200600_302600_NS18transform_iteratorI9row_indexNS9_17counting_iteratorImNS9_11use_defaultESD_SD_EESD_SD_EENS9_6detail15normal_iteratorINS9_10device_ptrIiEEEESK_iNS9_4plusIvEENS9_8equal_toIvEEiEE10hipError_tPvRmT2_T3_T4_T5_mT6_T7_P12ihipStream_tbENKUlT_T0_E_clISt17integral_constantIbLb0EES14_IbLb1EEEEDaS10_S11_EUlS10_E_NS1_11comp_targetILNS1_3genE10ELNS1_11target_archE1201ELNS1_3gpuE5ELNS1_3repE0EEENS1_30default_config_static_selectorELNS0_4arch9wavefront6targetE1EEEvT1_
; %bb.0:
	.section	.rodata,"a",@progbits
	.p2align	6, 0x0
	.amdhsa_kernel _ZN7rocprim17ROCPRIM_400000_NS6detail17trampoline_kernelINS0_14default_configENS1_27scan_by_key_config_selectorImiEEZZNS1_16scan_by_key_implILNS1_25lookback_scan_determinismE0ELb0ES3_N6thrust23THRUST_200600_302600_NS18transform_iteratorI9row_indexNS9_17counting_iteratorImNS9_11use_defaultESD_SD_EESD_SD_EENS9_6detail15normal_iteratorINS9_10device_ptrIiEEEESK_iNS9_4plusIvEENS9_8equal_toIvEEiEE10hipError_tPvRmT2_T3_T4_T5_mT6_T7_P12ihipStream_tbENKUlT_T0_E_clISt17integral_constantIbLb0EES14_IbLb1EEEEDaS10_S11_EUlS10_E_NS1_11comp_targetILNS1_3genE10ELNS1_11target_archE1201ELNS1_3gpuE5ELNS1_3repE0EEENS1_30default_config_static_selectorELNS0_4arch9wavefront6targetE1EEEvT1_
		.amdhsa_group_segment_fixed_size 0
		.amdhsa_private_segment_fixed_size 0
		.amdhsa_kernarg_size 120
		.amdhsa_user_sgpr_count 6
		.amdhsa_user_sgpr_private_segment_buffer 1
		.amdhsa_user_sgpr_dispatch_ptr 0
		.amdhsa_user_sgpr_queue_ptr 0
		.amdhsa_user_sgpr_kernarg_segment_ptr 1
		.amdhsa_user_sgpr_dispatch_id 0
		.amdhsa_user_sgpr_flat_scratch_init 0
		.amdhsa_user_sgpr_private_segment_size 0
		.amdhsa_uses_dynamic_stack 0
		.amdhsa_system_sgpr_private_segment_wavefront_offset 0
		.amdhsa_system_sgpr_workgroup_id_x 1
		.amdhsa_system_sgpr_workgroup_id_y 0
		.amdhsa_system_sgpr_workgroup_id_z 0
		.amdhsa_system_sgpr_workgroup_info 0
		.amdhsa_system_vgpr_workitem_id 0
		.amdhsa_next_free_vgpr 1
		.amdhsa_next_free_sgpr 0
		.amdhsa_reserve_vcc 0
		.amdhsa_reserve_flat_scratch 0
		.amdhsa_float_round_mode_32 0
		.amdhsa_float_round_mode_16_64 0
		.amdhsa_float_denorm_mode_32 3
		.amdhsa_float_denorm_mode_16_64 3
		.amdhsa_dx10_clamp 1
		.amdhsa_ieee_mode 1
		.amdhsa_fp16_overflow 0
		.amdhsa_exception_fp_ieee_invalid_op 0
		.amdhsa_exception_fp_denorm_src 0
		.amdhsa_exception_fp_ieee_div_zero 0
		.amdhsa_exception_fp_ieee_overflow 0
		.amdhsa_exception_fp_ieee_underflow 0
		.amdhsa_exception_fp_ieee_inexact 0
		.amdhsa_exception_int_div_zero 0
	.end_amdhsa_kernel
	.section	.text._ZN7rocprim17ROCPRIM_400000_NS6detail17trampoline_kernelINS0_14default_configENS1_27scan_by_key_config_selectorImiEEZZNS1_16scan_by_key_implILNS1_25lookback_scan_determinismE0ELb0ES3_N6thrust23THRUST_200600_302600_NS18transform_iteratorI9row_indexNS9_17counting_iteratorImNS9_11use_defaultESD_SD_EESD_SD_EENS9_6detail15normal_iteratorINS9_10device_ptrIiEEEESK_iNS9_4plusIvEENS9_8equal_toIvEEiEE10hipError_tPvRmT2_T3_T4_T5_mT6_T7_P12ihipStream_tbENKUlT_T0_E_clISt17integral_constantIbLb0EES14_IbLb1EEEEDaS10_S11_EUlS10_E_NS1_11comp_targetILNS1_3genE10ELNS1_11target_archE1201ELNS1_3gpuE5ELNS1_3repE0EEENS1_30default_config_static_selectorELNS0_4arch9wavefront6targetE1EEEvT1_,"axG",@progbits,_ZN7rocprim17ROCPRIM_400000_NS6detail17trampoline_kernelINS0_14default_configENS1_27scan_by_key_config_selectorImiEEZZNS1_16scan_by_key_implILNS1_25lookback_scan_determinismE0ELb0ES3_N6thrust23THRUST_200600_302600_NS18transform_iteratorI9row_indexNS9_17counting_iteratorImNS9_11use_defaultESD_SD_EESD_SD_EENS9_6detail15normal_iteratorINS9_10device_ptrIiEEEESK_iNS9_4plusIvEENS9_8equal_toIvEEiEE10hipError_tPvRmT2_T3_T4_T5_mT6_T7_P12ihipStream_tbENKUlT_T0_E_clISt17integral_constantIbLb0EES14_IbLb1EEEEDaS10_S11_EUlS10_E_NS1_11comp_targetILNS1_3genE10ELNS1_11target_archE1201ELNS1_3gpuE5ELNS1_3repE0EEENS1_30default_config_static_selectorELNS0_4arch9wavefront6targetE1EEEvT1_,comdat
.Lfunc_end37:
	.size	_ZN7rocprim17ROCPRIM_400000_NS6detail17trampoline_kernelINS0_14default_configENS1_27scan_by_key_config_selectorImiEEZZNS1_16scan_by_key_implILNS1_25lookback_scan_determinismE0ELb0ES3_N6thrust23THRUST_200600_302600_NS18transform_iteratorI9row_indexNS9_17counting_iteratorImNS9_11use_defaultESD_SD_EESD_SD_EENS9_6detail15normal_iteratorINS9_10device_ptrIiEEEESK_iNS9_4plusIvEENS9_8equal_toIvEEiEE10hipError_tPvRmT2_T3_T4_T5_mT6_T7_P12ihipStream_tbENKUlT_T0_E_clISt17integral_constantIbLb0EES14_IbLb1EEEEDaS10_S11_EUlS10_E_NS1_11comp_targetILNS1_3genE10ELNS1_11target_archE1201ELNS1_3gpuE5ELNS1_3repE0EEENS1_30default_config_static_selectorELNS0_4arch9wavefront6targetE1EEEvT1_, .Lfunc_end37-_ZN7rocprim17ROCPRIM_400000_NS6detail17trampoline_kernelINS0_14default_configENS1_27scan_by_key_config_selectorImiEEZZNS1_16scan_by_key_implILNS1_25lookback_scan_determinismE0ELb0ES3_N6thrust23THRUST_200600_302600_NS18transform_iteratorI9row_indexNS9_17counting_iteratorImNS9_11use_defaultESD_SD_EESD_SD_EENS9_6detail15normal_iteratorINS9_10device_ptrIiEEEESK_iNS9_4plusIvEENS9_8equal_toIvEEiEE10hipError_tPvRmT2_T3_T4_T5_mT6_T7_P12ihipStream_tbENKUlT_T0_E_clISt17integral_constantIbLb0EES14_IbLb1EEEEDaS10_S11_EUlS10_E_NS1_11comp_targetILNS1_3genE10ELNS1_11target_archE1201ELNS1_3gpuE5ELNS1_3repE0EEENS1_30default_config_static_selectorELNS0_4arch9wavefront6targetE1EEEvT1_
                                        ; -- End function
	.set _ZN7rocprim17ROCPRIM_400000_NS6detail17trampoline_kernelINS0_14default_configENS1_27scan_by_key_config_selectorImiEEZZNS1_16scan_by_key_implILNS1_25lookback_scan_determinismE0ELb0ES3_N6thrust23THRUST_200600_302600_NS18transform_iteratorI9row_indexNS9_17counting_iteratorImNS9_11use_defaultESD_SD_EESD_SD_EENS9_6detail15normal_iteratorINS9_10device_ptrIiEEEESK_iNS9_4plusIvEENS9_8equal_toIvEEiEE10hipError_tPvRmT2_T3_T4_T5_mT6_T7_P12ihipStream_tbENKUlT_T0_E_clISt17integral_constantIbLb0EES14_IbLb1EEEEDaS10_S11_EUlS10_E_NS1_11comp_targetILNS1_3genE10ELNS1_11target_archE1201ELNS1_3gpuE5ELNS1_3repE0EEENS1_30default_config_static_selectorELNS0_4arch9wavefront6targetE1EEEvT1_.num_vgpr, 0
	.set _ZN7rocprim17ROCPRIM_400000_NS6detail17trampoline_kernelINS0_14default_configENS1_27scan_by_key_config_selectorImiEEZZNS1_16scan_by_key_implILNS1_25lookback_scan_determinismE0ELb0ES3_N6thrust23THRUST_200600_302600_NS18transform_iteratorI9row_indexNS9_17counting_iteratorImNS9_11use_defaultESD_SD_EESD_SD_EENS9_6detail15normal_iteratorINS9_10device_ptrIiEEEESK_iNS9_4plusIvEENS9_8equal_toIvEEiEE10hipError_tPvRmT2_T3_T4_T5_mT6_T7_P12ihipStream_tbENKUlT_T0_E_clISt17integral_constantIbLb0EES14_IbLb1EEEEDaS10_S11_EUlS10_E_NS1_11comp_targetILNS1_3genE10ELNS1_11target_archE1201ELNS1_3gpuE5ELNS1_3repE0EEENS1_30default_config_static_selectorELNS0_4arch9wavefront6targetE1EEEvT1_.num_agpr, 0
	.set _ZN7rocprim17ROCPRIM_400000_NS6detail17trampoline_kernelINS0_14default_configENS1_27scan_by_key_config_selectorImiEEZZNS1_16scan_by_key_implILNS1_25lookback_scan_determinismE0ELb0ES3_N6thrust23THRUST_200600_302600_NS18transform_iteratorI9row_indexNS9_17counting_iteratorImNS9_11use_defaultESD_SD_EESD_SD_EENS9_6detail15normal_iteratorINS9_10device_ptrIiEEEESK_iNS9_4plusIvEENS9_8equal_toIvEEiEE10hipError_tPvRmT2_T3_T4_T5_mT6_T7_P12ihipStream_tbENKUlT_T0_E_clISt17integral_constantIbLb0EES14_IbLb1EEEEDaS10_S11_EUlS10_E_NS1_11comp_targetILNS1_3genE10ELNS1_11target_archE1201ELNS1_3gpuE5ELNS1_3repE0EEENS1_30default_config_static_selectorELNS0_4arch9wavefront6targetE1EEEvT1_.numbered_sgpr, 0
	.set _ZN7rocprim17ROCPRIM_400000_NS6detail17trampoline_kernelINS0_14default_configENS1_27scan_by_key_config_selectorImiEEZZNS1_16scan_by_key_implILNS1_25lookback_scan_determinismE0ELb0ES3_N6thrust23THRUST_200600_302600_NS18transform_iteratorI9row_indexNS9_17counting_iteratorImNS9_11use_defaultESD_SD_EESD_SD_EENS9_6detail15normal_iteratorINS9_10device_ptrIiEEEESK_iNS9_4plusIvEENS9_8equal_toIvEEiEE10hipError_tPvRmT2_T3_T4_T5_mT6_T7_P12ihipStream_tbENKUlT_T0_E_clISt17integral_constantIbLb0EES14_IbLb1EEEEDaS10_S11_EUlS10_E_NS1_11comp_targetILNS1_3genE10ELNS1_11target_archE1201ELNS1_3gpuE5ELNS1_3repE0EEENS1_30default_config_static_selectorELNS0_4arch9wavefront6targetE1EEEvT1_.num_named_barrier, 0
	.set _ZN7rocprim17ROCPRIM_400000_NS6detail17trampoline_kernelINS0_14default_configENS1_27scan_by_key_config_selectorImiEEZZNS1_16scan_by_key_implILNS1_25lookback_scan_determinismE0ELb0ES3_N6thrust23THRUST_200600_302600_NS18transform_iteratorI9row_indexNS9_17counting_iteratorImNS9_11use_defaultESD_SD_EESD_SD_EENS9_6detail15normal_iteratorINS9_10device_ptrIiEEEESK_iNS9_4plusIvEENS9_8equal_toIvEEiEE10hipError_tPvRmT2_T3_T4_T5_mT6_T7_P12ihipStream_tbENKUlT_T0_E_clISt17integral_constantIbLb0EES14_IbLb1EEEEDaS10_S11_EUlS10_E_NS1_11comp_targetILNS1_3genE10ELNS1_11target_archE1201ELNS1_3gpuE5ELNS1_3repE0EEENS1_30default_config_static_selectorELNS0_4arch9wavefront6targetE1EEEvT1_.private_seg_size, 0
	.set _ZN7rocprim17ROCPRIM_400000_NS6detail17trampoline_kernelINS0_14default_configENS1_27scan_by_key_config_selectorImiEEZZNS1_16scan_by_key_implILNS1_25lookback_scan_determinismE0ELb0ES3_N6thrust23THRUST_200600_302600_NS18transform_iteratorI9row_indexNS9_17counting_iteratorImNS9_11use_defaultESD_SD_EESD_SD_EENS9_6detail15normal_iteratorINS9_10device_ptrIiEEEESK_iNS9_4plusIvEENS9_8equal_toIvEEiEE10hipError_tPvRmT2_T3_T4_T5_mT6_T7_P12ihipStream_tbENKUlT_T0_E_clISt17integral_constantIbLb0EES14_IbLb1EEEEDaS10_S11_EUlS10_E_NS1_11comp_targetILNS1_3genE10ELNS1_11target_archE1201ELNS1_3gpuE5ELNS1_3repE0EEENS1_30default_config_static_selectorELNS0_4arch9wavefront6targetE1EEEvT1_.uses_vcc, 0
	.set _ZN7rocprim17ROCPRIM_400000_NS6detail17trampoline_kernelINS0_14default_configENS1_27scan_by_key_config_selectorImiEEZZNS1_16scan_by_key_implILNS1_25lookback_scan_determinismE0ELb0ES3_N6thrust23THRUST_200600_302600_NS18transform_iteratorI9row_indexNS9_17counting_iteratorImNS9_11use_defaultESD_SD_EESD_SD_EENS9_6detail15normal_iteratorINS9_10device_ptrIiEEEESK_iNS9_4plusIvEENS9_8equal_toIvEEiEE10hipError_tPvRmT2_T3_T4_T5_mT6_T7_P12ihipStream_tbENKUlT_T0_E_clISt17integral_constantIbLb0EES14_IbLb1EEEEDaS10_S11_EUlS10_E_NS1_11comp_targetILNS1_3genE10ELNS1_11target_archE1201ELNS1_3gpuE5ELNS1_3repE0EEENS1_30default_config_static_selectorELNS0_4arch9wavefront6targetE1EEEvT1_.uses_flat_scratch, 0
	.set _ZN7rocprim17ROCPRIM_400000_NS6detail17trampoline_kernelINS0_14default_configENS1_27scan_by_key_config_selectorImiEEZZNS1_16scan_by_key_implILNS1_25lookback_scan_determinismE0ELb0ES3_N6thrust23THRUST_200600_302600_NS18transform_iteratorI9row_indexNS9_17counting_iteratorImNS9_11use_defaultESD_SD_EESD_SD_EENS9_6detail15normal_iteratorINS9_10device_ptrIiEEEESK_iNS9_4plusIvEENS9_8equal_toIvEEiEE10hipError_tPvRmT2_T3_T4_T5_mT6_T7_P12ihipStream_tbENKUlT_T0_E_clISt17integral_constantIbLb0EES14_IbLb1EEEEDaS10_S11_EUlS10_E_NS1_11comp_targetILNS1_3genE10ELNS1_11target_archE1201ELNS1_3gpuE5ELNS1_3repE0EEENS1_30default_config_static_selectorELNS0_4arch9wavefront6targetE1EEEvT1_.has_dyn_sized_stack, 0
	.set _ZN7rocprim17ROCPRIM_400000_NS6detail17trampoline_kernelINS0_14default_configENS1_27scan_by_key_config_selectorImiEEZZNS1_16scan_by_key_implILNS1_25lookback_scan_determinismE0ELb0ES3_N6thrust23THRUST_200600_302600_NS18transform_iteratorI9row_indexNS9_17counting_iteratorImNS9_11use_defaultESD_SD_EESD_SD_EENS9_6detail15normal_iteratorINS9_10device_ptrIiEEEESK_iNS9_4plusIvEENS9_8equal_toIvEEiEE10hipError_tPvRmT2_T3_T4_T5_mT6_T7_P12ihipStream_tbENKUlT_T0_E_clISt17integral_constantIbLb0EES14_IbLb1EEEEDaS10_S11_EUlS10_E_NS1_11comp_targetILNS1_3genE10ELNS1_11target_archE1201ELNS1_3gpuE5ELNS1_3repE0EEENS1_30default_config_static_selectorELNS0_4arch9wavefront6targetE1EEEvT1_.has_recursion, 0
	.set _ZN7rocprim17ROCPRIM_400000_NS6detail17trampoline_kernelINS0_14default_configENS1_27scan_by_key_config_selectorImiEEZZNS1_16scan_by_key_implILNS1_25lookback_scan_determinismE0ELb0ES3_N6thrust23THRUST_200600_302600_NS18transform_iteratorI9row_indexNS9_17counting_iteratorImNS9_11use_defaultESD_SD_EESD_SD_EENS9_6detail15normal_iteratorINS9_10device_ptrIiEEEESK_iNS9_4plusIvEENS9_8equal_toIvEEiEE10hipError_tPvRmT2_T3_T4_T5_mT6_T7_P12ihipStream_tbENKUlT_T0_E_clISt17integral_constantIbLb0EES14_IbLb1EEEEDaS10_S11_EUlS10_E_NS1_11comp_targetILNS1_3genE10ELNS1_11target_archE1201ELNS1_3gpuE5ELNS1_3repE0EEENS1_30default_config_static_selectorELNS0_4arch9wavefront6targetE1EEEvT1_.has_indirect_call, 0
	.section	.AMDGPU.csdata,"",@progbits
; Kernel info:
; codeLenInByte = 0
; TotalNumSgprs: 4
; NumVgprs: 0
; ScratchSize: 0
; MemoryBound: 0
; FloatMode: 240
; IeeeMode: 1
; LDSByteSize: 0 bytes/workgroup (compile time only)
; SGPRBlocks: 0
; VGPRBlocks: 0
; NumSGPRsForWavesPerEU: 4
; NumVGPRsForWavesPerEU: 1
; Occupancy: 10
; WaveLimiterHint : 0
; COMPUTE_PGM_RSRC2:SCRATCH_EN: 0
; COMPUTE_PGM_RSRC2:USER_SGPR: 6
; COMPUTE_PGM_RSRC2:TRAP_HANDLER: 0
; COMPUTE_PGM_RSRC2:TGID_X_EN: 1
; COMPUTE_PGM_RSRC2:TGID_Y_EN: 0
; COMPUTE_PGM_RSRC2:TGID_Z_EN: 0
; COMPUTE_PGM_RSRC2:TIDIG_COMP_CNT: 0
	.section	.text._ZN7rocprim17ROCPRIM_400000_NS6detail17trampoline_kernelINS0_14default_configENS1_27scan_by_key_config_selectorImiEEZZNS1_16scan_by_key_implILNS1_25lookback_scan_determinismE0ELb0ES3_N6thrust23THRUST_200600_302600_NS18transform_iteratorI9row_indexNS9_17counting_iteratorImNS9_11use_defaultESD_SD_EESD_SD_EENS9_6detail15normal_iteratorINS9_10device_ptrIiEEEESK_iNS9_4plusIvEENS9_8equal_toIvEEiEE10hipError_tPvRmT2_T3_T4_T5_mT6_T7_P12ihipStream_tbENKUlT_T0_E_clISt17integral_constantIbLb0EES14_IbLb1EEEEDaS10_S11_EUlS10_E_NS1_11comp_targetILNS1_3genE5ELNS1_11target_archE942ELNS1_3gpuE9ELNS1_3repE0EEENS1_30default_config_static_selectorELNS0_4arch9wavefront6targetE1EEEvT1_,"axG",@progbits,_ZN7rocprim17ROCPRIM_400000_NS6detail17trampoline_kernelINS0_14default_configENS1_27scan_by_key_config_selectorImiEEZZNS1_16scan_by_key_implILNS1_25lookback_scan_determinismE0ELb0ES3_N6thrust23THRUST_200600_302600_NS18transform_iteratorI9row_indexNS9_17counting_iteratorImNS9_11use_defaultESD_SD_EESD_SD_EENS9_6detail15normal_iteratorINS9_10device_ptrIiEEEESK_iNS9_4plusIvEENS9_8equal_toIvEEiEE10hipError_tPvRmT2_T3_T4_T5_mT6_T7_P12ihipStream_tbENKUlT_T0_E_clISt17integral_constantIbLb0EES14_IbLb1EEEEDaS10_S11_EUlS10_E_NS1_11comp_targetILNS1_3genE5ELNS1_11target_archE942ELNS1_3gpuE9ELNS1_3repE0EEENS1_30default_config_static_selectorELNS0_4arch9wavefront6targetE1EEEvT1_,comdat
	.protected	_ZN7rocprim17ROCPRIM_400000_NS6detail17trampoline_kernelINS0_14default_configENS1_27scan_by_key_config_selectorImiEEZZNS1_16scan_by_key_implILNS1_25lookback_scan_determinismE0ELb0ES3_N6thrust23THRUST_200600_302600_NS18transform_iteratorI9row_indexNS9_17counting_iteratorImNS9_11use_defaultESD_SD_EESD_SD_EENS9_6detail15normal_iteratorINS9_10device_ptrIiEEEESK_iNS9_4plusIvEENS9_8equal_toIvEEiEE10hipError_tPvRmT2_T3_T4_T5_mT6_T7_P12ihipStream_tbENKUlT_T0_E_clISt17integral_constantIbLb0EES14_IbLb1EEEEDaS10_S11_EUlS10_E_NS1_11comp_targetILNS1_3genE5ELNS1_11target_archE942ELNS1_3gpuE9ELNS1_3repE0EEENS1_30default_config_static_selectorELNS0_4arch9wavefront6targetE1EEEvT1_ ; -- Begin function _ZN7rocprim17ROCPRIM_400000_NS6detail17trampoline_kernelINS0_14default_configENS1_27scan_by_key_config_selectorImiEEZZNS1_16scan_by_key_implILNS1_25lookback_scan_determinismE0ELb0ES3_N6thrust23THRUST_200600_302600_NS18transform_iteratorI9row_indexNS9_17counting_iteratorImNS9_11use_defaultESD_SD_EESD_SD_EENS9_6detail15normal_iteratorINS9_10device_ptrIiEEEESK_iNS9_4plusIvEENS9_8equal_toIvEEiEE10hipError_tPvRmT2_T3_T4_T5_mT6_T7_P12ihipStream_tbENKUlT_T0_E_clISt17integral_constantIbLb0EES14_IbLb1EEEEDaS10_S11_EUlS10_E_NS1_11comp_targetILNS1_3genE5ELNS1_11target_archE942ELNS1_3gpuE9ELNS1_3repE0EEENS1_30default_config_static_selectorELNS0_4arch9wavefront6targetE1EEEvT1_
	.globl	_ZN7rocprim17ROCPRIM_400000_NS6detail17trampoline_kernelINS0_14default_configENS1_27scan_by_key_config_selectorImiEEZZNS1_16scan_by_key_implILNS1_25lookback_scan_determinismE0ELb0ES3_N6thrust23THRUST_200600_302600_NS18transform_iteratorI9row_indexNS9_17counting_iteratorImNS9_11use_defaultESD_SD_EESD_SD_EENS9_6detail15normal_iteratorINS9_10device_ptrIiEEEESK_iNS9_4plusIvEENS9_8equal_toIvEEiEE10hipError_tPvRmT2_T3_T4_T5_mT6_T7_P12ihipStream_tbENKUlT_T0_E_clISt17integral_constantIbLb0EES14_IbLb1EEEEDaS10_S11_EUlS10_E_NS1_11comp_targetILNS1_3genE5ELNS1_11target_archE942ELNS1_3gpuE9ELNS1_3repE0EEENS1_30default_config_static_selectorELNS0_4arch9wavefront6targetE1EEEvT1_
	.p2align	8
	.type	_ZN7rocprim17ROCPRIM_400000_NS6detail17trampoline_kernelINS0_14default_configENS1_27scan_by_key_config_selectorImiEEZZNS1_16scan_by_key_implILNS1_25lookback_scan_determinismE0ELb0ES3_N6thrust23THRUST_200600_302600_NS18transform_iteratorI9row_indexNS9_17counting_iteratorImNS9_11use_defaultESD_SD_EESD_SD_EENS9_6detail15normal_iteratorINS9_10device_ptrIiEEEESK_iNS9_4plusIvEENS9_8equal_toIvEEiEE10hipError_tPvRmT2_T3_T4_T5_mT6_T7_P12ihipStream_tbENKUlT_T0_E_clISt17integral_constantIbLb0EES14_IbLb1EEEEDaS10_S11_EUlS10_E_NS1_11comp_targetILNS1_3genE5ELNS1_11target_archE942ELNS1_3gpuE9ELNS1_3repE0EEENS1_30default_config_static_selectorELNS0_4arch9wavefront6targetE1EEEvT1_,@function
_ZN7rocprim17ROCPRIM_400000_NS6detail17trampoline_kernelINS0_14default_configENS1_27scan_by_key_config_selectorImiEEZZNS1_16scan_by_key_implILNS1_25lookback_scan_determinismE0ELb0ES3_N6thrust23THRUST_200600_302600_NS18transform_iteratorI9row_indexNS9_17counting_iteratorImNS9_11use_defaultESD_SD_EESD_SD_EENS9_6detail15normal_iteratorINS9_10device_ptrIiEEEESK_iNS9_4plusIvEENS9_8equal_toIvEEiEE10hipError_tPvRmT2_T3_T4_T5_mT6_T7_P12ihipStream_tbENKUlT_T0_E_clISt17integral_constantIbLb0EES14_IbLb1EEEEDaS10_S11_EUlS10_E_NS1_11comp_targetILNS1_3genE5ELNS1_11target_archE942ELNS1_3gpuE9ELNS1_3repE0EEENS1_30default_config_static_selectorELNS0_4arch9wavefront6targetE1EEEvT1_: ; @_ZN7rocprim17ROCPRIM_400000_NS6detail17trampoline_kernelINS0_14default_configENS1_27scan_by_key_config_selectorImiEEZZNS1_16scan_by_key_implILNS1_25lookback_scan_determinismE0ELb0ES3_N6thrust23THRUST_200600_302600_NS18transform_iteratorI9row_indexNS9_17counting_iteratorImNS9_11use_defaultESD_SD_EESD_SD_EENS9_6detail15normal_iteratorINS9_10device_ptrIiEEEESK_iNS9_4plusIvEENS9_8equal_toIvEEiEE10hipError_tPvRmT2_T3_T4_T5_mT6_T7_P12ihipStream_tbENKUlT_T0_E_clISt17integral_constantIbLb0EES14_IbLb1EEEEDaS10_S11_EUlS10_E_NS1_11comp_targetILNS1_3genE5ELNS1_11target_archE942ELNS1_3gpuE9ELNS1_3repE0EEENS1_30default_config_static_selectorELNS0_4arch9wavefront6targetE1EEEvT1_
; %bb.0:
	.section	.rodata,"a",@progbits
	.p2align	6, 0x0
	.amdhsa_kernel _ZN7rocprim17ROCPRIM_400000_NS6detail17trampoline_kernelINS0_14default_configENS1_27scan_by_key_config_selectorImiEEZZNS1_16scan_by_key_implILNS1_25lookback_scan_determinismE0ELb0ES3_N6thrust23THRUST_200600_302600_NS18transform_iteratorI9row_indexNS9_17counting_iteratorImNS9_11use_defaultESD_SD_EESD_SD_EENS9_6detail15normal_iteratorINS9_10device_ptrIiEEEESK_iNS9_4plusIvEENS9_8equal_toIvEEiEE10hipError_tPvRmT2_T3_T4_T5_mT6_T7_P12ihipStream_tbENKUlT_T0_E_clISt17integral_constantIbLb0EES14_IbLb1EEEEDaS10_S11_EUlS10_E_NS1_11comp_targetILNS1_3genE5ELNS1_11target_archE942ELNS1_3gpuE9ELNS1_3repE0EEENS1_30default_config_static_selectorELNS0_4arch9wavefront6targetE1EEEvT1_
		.amdhsa_group_segment_fixed_size 0
		.amdhsa_private_segment_fixed_size 0
		.amdhsa_kernarg_size 120
		.amdhsa_user_sgpr_count 6
		.amdhsa_user_sgpr_private_segment_buffer 1
		.amdhsa_user_sgpr_dispatch_ptr 0
		.amdhsa_user_sgpr_queue_ptr 0
		.amdhsa_user_sgpr_kernarg_segment_ptr 1
		.amdhsa_user_sgpr_dispatch_id 0
		.amdhsa_user_sgpr_flat_scratch_init 0
		.amdhsa_user_sgpr_private_segment_size 0
		.amdhsa_uses_dynamic_stack 0
		.amdhsa_system_sgpr_private_segment_wavefront_offset 0
		.amdhsa_system_sgpr_workgroup_id_x 1
		.amdhsa_system_sgpr_workgroup_id_y 0
		.amdhsa_system_sgpr_workgroup_id_z 0
		.amdhsa_system_sgpr_workgroup_info 0
		.amdhsa_system_vgpr_workitem_id 0
		.amdhsa_next_free_vgpr 1
		.amdhsa_next_free_sgpr 0
		.amdhsa_reserve_vcc 0
		.amdhsa_reserve_flat_scratch 0
		.amdhsa_float_round_mode_32 0
		.amdhsa_float_round_mode_16_64 0
		.amdhsa_float_denorm_mode_32 3
		.amdhsa_float_denorm_mode_16_64 3
		.amdhsa_dx10_clamp 1
		.amdhsa_ieee_mode 1
		.amdhsa_fp16_overflow 0
		.amdhsa_exception_fp_ieee_invalid_op 0
		.amdhsa_exception_fp_denorm_src 0
		.amdhsa_exception_fp_ieee_div_zero 0
		.amdhsa_exception_fp_ieee_overflow 0
		.amdhsa_exception_fp_ieee_underflow 0
		.amdhsa_exception_fp_ieee_inexact 0
		.amdhsa_exception_int_div_zero 0
	.end_amdhsa_kernel
	.section	.text._ZN7rocprim17ROCPRIM_400000_NS6detail17trampoline_kernelINS0_14default_configENS1_27scan_by_key_config_selectorImiEEZZNS1_16scan_by_key_implILNS1_25lookback_scan_determinismE0ELb0ES3_N6thrust23THRUST_200600_302600_NS18transform_iteratorI9row_indexNS9_17counting_iteratorImNS9_11use_defaultESD_SD_EESD_SD_EENS9_6detail15normal_iteratorINS9_10device_ptrIiEEEESK_iNS9_4plusIvEENS9_8equal_toIvEEiEE10hipError_tPvRmT2_T3_T4_T5_mT6_T7_P12ihipStream_tbENKUlT_T0_E_clISt17integral_constantIbLb0EES14_IbLb1EEEEDaS10_S11_EUlS10_E_NS1_11comp_targetILNS1_3genE5ELNS1_11target_archE942ELNS1_3gpuE9ELNS1_3repE0EEENS1_30default_config_static_selectorELNS0_4arch9wavefront6targetE1EEEvT1_,"axG",@progbits,_ZN7rocprim17ROCPRIM_400000_NS6detail17trampoline_kernelINS0_14default_configENS1_27scan_by_key_config_selectorImiEEZZNS1_16scan_by_key_implILNS1_25lookback_scan_determinismE0ELb0ES3_N6thrust23THRUST_200600_302600_NS18transform_iteratorI9row_indexNS9_17counting_iteratorImNS9_11use_defaultESD_SD_EESD_SD_EENS9_6detail15normal_iteratorINS9_10device_ptrIiEEEESK_iNS9_4plusIvEENS9_8equal_toIvEEiEE10hipError_tPvRmT2_T3_T4_T5_mT6_T7_P12ihipStream_tbENKUlT_T0_E_clISt17integral_constantIbLb0EES14_IbLb1EEEEDaS10_S11_EUlS10_E_NS1_11comp_targetILNS1_3genE5ELNS1_11target_archE942ELNS1_3gpuE9ELNS1_3repE0EEENS1_30default_config_static_selectorELNS0_4arch9wavefront6targetE1EEEvT1_,comdat
.Lfunc_end38:
	.size	_ZN7rocprim17ROCPRIM_400000_NS6detail17trampoline_kernelINS0_14default_configENS1_27scan_by_key_config_selectorImiEEZZNS1_16scan_by_key_implILNS1_25lookback_scan_determinismE0ELb0ES3_N6thrust23THRUST_200600_302600_NS18transform_iteratorI9row_indexNS9_17counting_iteratorImNS9_11use_defaultESD_SD_EESD_SD_EENS9_6detail15normal_iteratorINS9_10device_ptrIiEEEESK_iNS9_4plusIvEENS9_8equal_toIvEEiEE10hipError_tPvRmT2_T3_T4_T5_mT6_T7_P12ihipStream_tbENKUlT_T0_E_clISt17integral_constantIbLb0EES14_IbLb1EEEEDaS10_S11_EUlS10_E_NS1_11comp_targetILNS1_3genE5ELNS1_11target_archE942ELNS1_3gpuE9ELNS1_3repE0EEENS1_30default_config_static_selectorELNS0_4arch9wavefront6targetE1EEEvT1_, .Lfunc_end38-_ZN7rocprim17ROCPRIM_400000_NS6detail17trampoline_kernelINS0_14default_configENS1_27scan_by_key_config_selectorImiEEZZNS1_16scan_by_key_implILNS1_25lookback_scan_determinismE0ELb0ES3_N6thrust23THRUST_200600_302600_NS18transform_iteratorI9row_indexNS9_17counting_iteratorImNS9_11use_defaultESD_SD_EESD_SD_EENS9_6detail15normal_iteratorINS9_10device_ptrIiEEEESK_iNS9_4plusIvEENS9_8equal_toIvEEiEE10hipError_tPvRmT2_T3_T4_T5_mT6_T7_P12ihipStream_tbENKUlT_T0_E_clISt17integral_constantIbLb0EES14_IbLb1EEEEDaS10_S11_EUlS10_E_NS1_11comp_targetILNS1_3genE5ELNS1_11target_archE942ELNS1_3gpuE9ELNS1_3repE0EEENS1_30default_config_static_selectorELNS0_4arch9wavefront6targetE1EEEvT1_
                                        ; -- End function
	.set _ZN7rocprim17ROCPRIM_400000_NS6detail17trampoline_kernelINS0_14default_configENS1_27scan_by_key_config_selectorImiEEZZNS1_16scan_by_key_implILNS1_25lookback_scan_determinismE0ELb0ES3_N6thrust23THRUST_200600_302600_NS18transform_iteratorI9row_indexNS9_17counting_iteratorImNS9_11use_defaultESD_SD_EESD_SD_EENS9_6detail15normal_iteratorINS9_10device_ptrIiEEEESK_iNS9_4plusIvEENS9_8equal_toIvEEiEE10hipError_tPvRmT2_T3_T4_T5_mT6_T7_P12ihipStream_tbENKUlT_T0_E_clISt17integral_constantIbLb0EES14_IbLb1EEEEDaS10_S11_EUlS10_E_NS1_11comp_targetILNS1_3genE5ELNS1_11target_archE942ELNS1_3gpuE9ELNS1_3repE0EEENS1_30default_config_static_selectorELNS0_4arch9wavefront6targetE1EEEvT1_.num_vgpr, 0
	.set _ZN7rocprim17ROCPRIM_400000_NS6detail17trampoline_kernelINS0_14default_configENS1_27scan_by_key_config_selectorImiEEZZNS1_16scan_by_key_implILNS1_25lookback_scan_determinismE0ELb0ES3_N6thrust23THRUST_200600_302600_NS18transform_iteratorI9row_indexNS9_17counting_iteratorImNS9_11use_defaultESD_SD_EESD_SD_EENS9_6detail15normal_iteratorINS9_10device_ptrIiEEEESK_iNS9_4plusIvEENS9_8equal_toIvEEiEE10hipError_tPvRmT2_T3_T4_T5_mT6_T7_P12ihipStream_tbENKUlT_T0_E_clISt17integral_constantIbLb0EES14_IbLb1EEEEDaS10_S11_EUlS10_E_NS1_11comp_targetILNS1_3genE5ELNS1_11target_archE942ELNS1_3gpuE9ELNS1_3repE0EEENS1_30default_config_static_selectorELNS0_4arch9wavefront6targetE1EEEvT1_.num_agpr, 0
	.set _ZN7rocprim17ROCPRIM_400000_NS6detail17trampoline_kernelINS0_14default_configENS1_27scan_by_key_config_selectorImiEEZZNS1_16scan_by_key_implILNS1_25lookback_scan_determinismE0ELb0ES3_N6thrust23THRUST_200600_302600_NS18transform_iteratorI9row_indexNS9_17counting_iteratorImNS9_11use_defaultESD_SD_EESD_SD_EENS9_6detail15normal_iteratorINS9_10device_ptrIiEEEESK_iNS9_4plusIvEENS9_8equal_toIvEEiEE10hipError_tPvRmT2_T3_T4_T5_mT6_T7_P12ihipStream_tbENKUlT_T0_E_clISt17integral_constantIbLb0EES14_IbLb1EEEEDaS10_S11_EUlS10_E_NS1_11comp_targetILNS1_3genE5ELNS1_11target_archE942ELNS1_3gpuE9ELNS1_3repE0EEENS1_30default_config_static_selectorELNS0_4arch9wavefront6targetE1EEEvT1_.numbered_sgpr, 0
	.set _ZN7rocprim17ROCPRIM_400000_NS6detail17trampoline_kernelINS0_14default_configENS1_27scan_by_key_config_selectorImiEEZZNS1_16scan_by_key_implILNS1_25lookback_scan_determinismE0ELb0ES3_N6thrust23THRUST_200600_302600_NS18transform_iteratorI9row_indexNS9_17counting_iteratorImNS9_11use_defaultESD_SD_EESD_SD_EENS9_6detail15normal_iteratorINS9_10device_ptrIiEEEESK_iNS9_4plusIvEENS9_8equal_toIvEEiEE10hipError_tPvRmT2_T3_T4_T5_mT6_T7_P12ihipStream_tbENKUlT_T0_E_clISt17integral_constantIbLb0EES14_IbLb1EEEEDaS10_S11_EUlS10_E_NS1_11comp_targetILNS1_3genE5ELNS1_11target_archE942ELNS1_3gpuE9ELNS1_3repE0EEENS1_30default_config_static_selectorELNS0_4arch9wavefront6targetE1EEEvT1_.num_named_barrier, 0
	.set _ZN7rocprim17ROCPRIM_400000_NS6detail17trampoline_kernelINS0_14default_configENS1_27scan_by_key_config_selectorImiEEZZNS1_16scan_by_key_implILNS1_25lookback_scan_determinismE0ELb0ES3_N6thrust23THRUST_200600_302600_NS18transform_iteratorI9row_indexNS9_17counting_iteratorImNS9_11use_defaultESD_SD_EESD_SD_EENS9_6detail15normal_iteratorINS9_10device_ptrIiEEEESK_iNS9_4plusIvEENS9_8equal_toIvEEiEE10hipError_tPvRmT2_T3_T4_T5_mT6_T7_P12ihipStream_tbENKUlT_T0_E_clISt17integral_constantIbLb0EES14_IbLb1EEEEDaS10_S11_EUlS10_E_NS1_11comp_targetILNS1_3genE5ELNS1_11target_archE942ELNS1_3gpuE9ELNS1_3repE0EEENS1_30default_config_static_selectorELNS0_4arch9wavefront6targetE1EEEvT1_.private_seg_size, 0
	.set _ZN7rocprim17ROCPRIM_400000_NS6detail17trampoline_kernelINS0_14default_configENS1_27scan_by_key_config_selectorImiEEZZNS1_16scan_by_key_implILNS1_25lookback_scan_determinismE0ELb0ES3_N6thrust23THRUST_200600_302600_NS18transform_iteratorI9row_indexNS9_17counting_iteratorImNS9_11use_defaultESD_SD_EESD_SD_EENS9_6detail15normal_iteratorINS9_10device_ptrIiEEEESK_iNS9_4plusIvEENS9_8equal_toIvEEiEE10hipError_tPvRmT2_T3_T4_T5_mT6_T7_P12ihipStream_tbENKUlT_T0_E_clISt17integral_constantIbLb0EES14_IbLb1EEEEDaS10_S11_EUlS10_E_NS1_11comp_targetILNS1_3genE5ELNS1_11target_archE942ELNS1_3gpuE9ELNS1_3repE0EEENS1_30default_config_static_selectorELNS0_4arch9wavefront6targetE1EEEvT1_.uses_vcc, 0
	.set _ZN7rocprim17ROCPRIM_400000_NS6detail17trampoline_kernelINS0_14default_configENS1_27scan_by_key_config_selectorImiEEZZNS1_16scan_by_key_implILNS1_25lookback_scan_determinismE0ELb0ES3_N6thrust23THRUST_200600_302600_NS18transform_iteratorI9row_indexNS9_17counting_iteratorImNS9_11use_defaultESD_SD_EESD_SD_EENS9_6detail15normal_iteratorINS9_10device_ptrIiEEEESK_iNS9_4plusIvEENS9_8equal_toIvEEiEE10hipError_tPvRmT2_T3_T4_T5_mT6_T7_P12ihipStream_tbENKUlT_T0_E_clISt17integral_constantIbLb0EES14_IbLb1EEEEDaS10_S11_EUlS10_E_NS1_11comp_targetILNS1_3genE5ELNS1_11target_archE942ELNS1_3gpuE9ELNS1_3repE0EEENS1_30default_config_static_selectorELNS0_4arch9wavefront6targetE1EEEvT1_.uses_flat_scratch, 0
	.set _ZN7rocprim17ROCPRIM_400000_NS6detail17trampoline_kernelINS0_14default_configENS1_27scan_by_key_config_selectorImiEEZZNS1_16scan_by_key_implILNS1_25lookback_scan_determinismE0ELb0ES3_N6thrust23THRUST_200600_302600_NS18transform_iteratorI9row_indexNS9_17counting_iteratorImNS9_11use_defaultESD_SD_EESD_SD_EENS9_6detail15normal_iteratorINS9_10device_ptrIiEEEESK_iNS9_4plusIvEENS9_8equal_toIvEEiEE10hipError_tPvRmT2_T3_T4_T5_mT6_T7_P12ihipStream_tbENKUlT_T0_E_clISt17integral_constantIbLb0EES14_IbLb1EEEEDaS10_S11_EUlS10_E_NS1_11comp_targetILNS1_3genE5ELNS1_11target_archE942ELNS1_3gpuE9ELNS1_3repE0EEENS1_30default_config_static_selectorELNS0_4arch9wavefront6targetE1EEEvT1_.has_dyn_sized_stack, 0
	.set _ZN7rocprim17ROCPRIM_400000_NS6detail17trampoline_kernelINS0_14default_configENS1_27scan_by_key_config_selectorImiEEZZNS1_16scan_by_key_implILNS1_25lookback_scan_determinismE0ELb0ES3_N6thrust23THRUST_200600_302600_NS18transform_iteratorI9row_indexNS9_17counting_iteratorImNS9_11use_defaultESD_SD_EESD_SD_EENS9_6detail15normal_iteratorINS9_10device_ptrIiEEEESK_iNS9_4plusIvEENS9_8equal_toIvEEiEE10hipError_tPvRmT2_T3_T4_T5_mT6_T7_P12ihipStream_tbENKUlT_T0_E_clISt17integral_constantIbLb0EES14_IbLb1EEEEDaS10_S11_EUlS10_E_NS1_11comp_targetILNS1_3genE5ELNS1_11target_archE942ELNS1_3gpuE9ELNS1_3repE0EEENS1_30default_config_static_selectorELNS0_4arch9wavefront6targetE1EEEvT1_.has_recursion, 0
	.set _ZN7rocprim17ROCPRIM_400000_NS6detail17trampoline_kernelINS0_14default_configENS1_27scan_by_key_config_selectorImiEEZZNS1_16scan_by_key_implILNS1_25lookback_scan_determinismE0ELb0ES3_N6thrust23THRUST_200600_302600_NS18transform_iteratorI9row_indexNS9_17counting_iteratorImNS9_11use_defaultESD_SD_EESD_SD_EENS9_6detail15normal_iteratorINS9_10device_ptrIiEEEESK_iNS9_4plusIvEENS9_8equal_toIvEEiEE10hipError_tPvRmT2_T3_T4_T5_mT6_T7_P12ihipStream_tbENKUlT_T0_E_clISt17integral_constantIbLb0EES14_IbLb1EEEEDaS10_S11_EUlS10_E_NS1_11comp_targetILNS1_3genE5ELNS1_11target_archE942ELNS1_3gpuE9ELNS1_3repE0EEENS1_30default_config_static_selectorELNS0_4arch9wavefront6targetE1EEEvT1_.has_indirect_call, 0
	.section	.AMDGPU.csdata,"",@progbits
; Kernel info:
; codeLenInByte = 0
; TotalNumSgprs: 4
; NumVgprs: 0
; ScratchSize: 0
; MemoryBound: 0
; FloatMode: 240
; IeeeMode: 1
; LDSByteSize: 0 bytes/workgroup (compile time only)
; SGPRBlocks: 0
; VGPRBlocks: 0
; NumSGPRsForWavesPerEU: 4
; NumVGPRsForWavesPerEU: 1
; Occupancy: 10
; WaveLimiterHint : 0
; COMPUTE_PGM_RSRC2:SCRATCH_EN: 0
; COMPUTE_PGM_RSRC2:USER_SGPR: 6
; COMPUTE_PGM_RSRC2:TRAP_HANDLER: 0
; COMPUTE_PGM_RSRC2:TGID_X_EN: 1
; COMPUTE_PGM_RSRC2:TGID_Y_EN: 0
; COMPUTE_PGM_RSRC2:TGID_Z_EN: 0
; COMPUTE_PGM_RSRC2:TIDIG_COMP_CNT: 0
	.section	.text._ZN7rocprim17ROCPRIM_400000_NS6detail17trampoline_kernelINS0_14default_configENS1_27scan_by_key_config_selectorImiEEZZNS1_16scan_by_key_implILNS1_25lookback_scan_determinismE0ELb0ES3_N6thrust23THRUST_200600_302600_NS18transform_iteratorI9row_indexNS9_17counting_iteratorImNS9_11use_defaultESD_SD_EESD_SD_EENS9_6detail15normal_iteratorINS9_10device_ptrIiEEEESK_iNS9_4plusIvEENS9_8equal_toIvEEiEE10hipError_tPvRmT2_T3_T4_T5_mT6_T7_P12ihipStream_tbENKUlT_T0_E_clISt17integral_constantIbLb0EES14_IbLb1EEEEDaS10_S11_EUlS10_E_NS1_11comp_targetILNS1_3genE4ELNS1_11target_archE910ELNS1_3gpuE8ELNS1_3repE0EEENS1_30default_config_static_selectorELNS0_4arch9wavefront6targetE1EEEvT1_,"axG",@progbits,_ZN7rocprim17ROCPRIM_400000_NS6detail17trampoline_kernelINS0_14default_configENS1_27scan_by_key_config_selectorImiEEZZNS1_16scan_by_key_implILNS1_25lookback_scan_determinismE0ELb0ES3_N6thrust23THRUST_200600_302600_NS18transform_iteratorI9row_indexNS9_17counting_iteratorImNS9_11use_defaultESD_SD_EESD_SD_EENS9_6detail15normal_iteratorINS9_10device_ptrIiEEEESK_iNS9_4plusIvEENS9_8equal_toIvEEiEE10hipError_tPvRmT2_T3_T4_T5_mT6_T7_P12ihipStream_tbENKUlT_T0_E_clISt17integral_constantIbLb0EES14_IbLb1EEEEDaS10_S11_EUlS10_E_NS1_11comp_targetILNS1_3genE4ELNS1_11target_archE910ELNS1_3gpuE8ELNS1_3repE0EEENS1_30default_config_static_selectorELNS0_4arch9wavefront6targetE1EEEvT1_,comdat
	.protected	_ZN7rocprim17ROCPRIM_400000_NS6detail17trampoline_kernelINS0_14default_configENS1_27scan_by_key_config_selectorImiEEZZNS1_16scan_by_key_implILNS1_25lookback_scan_determinismE0ELb0ES3_N6thrust23THRUST_200600_302600_NS18transform_iteratorI9row_indexNS9_17counting_iteratorImNS9_11use_defaultESD_SD_EESD_SD_EENS9_6detail15normal_iteratorINS9_10device_ptrIiEEEESK_iNS9_4plusIvEENS9_8equal_toIvEEiEE10hipError_tPvRmT2_T3_T4_T5_mT6_T7_P12ihipStream_tbENKUlT_T0_E_clISt17integral_constantIbLb0EES14_IbLb1EEEEDaS10_S11_EUlS10_E_NS1_11comp_targetILNS1_3genE4ELNS1_11target_archE910ELNS1_3gpuE8ELNS1_3repE0EEENS1_30default_config_static_selectorELNS0_4arch9wavefront6targetE1EEEvT1_ ; -- Begin function _ZN7rocprim17ROCPRIM_400000_NS6detail17trampoline_kernelINS0_14default_configENS1_27scan_by_key_config_selectorImiEEZZNS1_16scan_by_key_implILNS1_25lookback_scan_determinismE0ELb0ES3_N6thrust23THRUST_200600_302600_NS18transform_iteratorI9row_indexNS9_17counting_iteratorImNS9_11use_defaultESD_SD_EESD_SD_EENS9_6detail15normal_iteratorINS9_10device_ptrIiEEEESK_iNS9_4plusIvEENS9_8equal_toIvEEiEE10hipError_tPvRmT2_T3_T4_T5_mT6_T7_P12ihipStream_tbENKUlT_T0_E_clISt17integral_constantIbLb0EES14_IbLb1EEEEDaS10_S11_EUlS10_E_NS1_11comp_targetILNS1_3genE4ELNS1_11target_archE910ELNS1_3gpuE8ELNS1_3repE0EEENS1_30default_config_static_selectorELNS0_4arch9wavefront6targetE1EEEvT1_
	.globl	_ZN7rocprim17ROCPRIM_400000_NS6detail17trampoline_kernelINS0_14default_configENS1_27scan_by_key_config_selectorImiEEZZNS1_16scan_by_key_implILNS1_25lookback_scan_determinismE0ELb0ES3_N6thrust23THRUST_200600_302600_NS18transform_iteratorI9row_indexNS9_17counting_iteratorImNS9_11use_defaultESD_SD_EESD_SD_EENS9_6detail15normal_iteratorINS9_10device_ptrIiEEEESK_iNS9_4plusIvEENS9_8equal_toIvEEiEE10hipError_tPvRmT2_T3_T4_T5_mT6_T7_P12ihipStream_tbENKUlT_T0_E_clISt17integral_constantIbLb0EES14_IbLb1EEEEDaS10_S11_EUlS10_E_NS1_11comp_targetILNS1_3genE4ELNS1_11target_archE910ELNS1_3gpuE8ELNS1_3repE0EEENS1_30default_config_static_selectorELNS0_4arch9wavefront6targetE1EEEvT1_
	.p2align	8
	.type	_ZN7rocprim17ROCPRIM_400000_NS6detail17trampoline_kernelINS0_14default_configENS1_27scan_by_key_config_selectorImiEEZZNS1_16scan_by_key_implILNS1_25lookback_scan_determinismE0ELb0ES3_N6thrust23THRUST_200600_302600_NS18transform_iteratorI9row_indexNS9_17counting_iteratorImNS9_11use_defaultESD_SD_EESD_SD_EENS9_6detail15normal_iteratorINS9_10device_ptrIiEEEESK_iNS9_4plusIvEENS9_8equal_toIvEEiEE10hipError_tPvRmT2_T3_T4_T5_mT6_T7_P12ihipStream_tbENKUlT_T0_E_clISt17integral_constantIbLb0EES14_IbLb1EEEEDaS10_S11_EUlS10_E_NS1_11comp_targetILNS1_3genE4ELNS1_11target_archE910ELNS1_3gpuE8ELNS1_3repE0EEENS1_30default_config_static_selectorELNS0_4arch9wavefront6targetE1EEEvT1_,@function
_ZN7rocprim17ROCPRIM_400000_NS6detail17trampoline_kernelINS0_14default_configENS1_27scan_by_key_config_selectorImiEEZZNS1_16scan_by_key_implILNS1_25lookback_scan_determinismE0ELb0ES3_N6thrust23THRUST_200600_302600_NS18transform_iteratorI9row_indexNS9_17counting_iteratorImNS9_11use_defaultESD_SD_EESD_SD_EENS9_6detail15normal_iteratorINS9_10device_ptrIiEEEESK_iNS9_4plusIvEENS9_8equal_toIvEEiEE10hipError_tPvRmT2_T3_T4_T5_mT6_T7_P12ihipStream_tbENKUlT_T0_E_clISt17integral_constantIbLb0EES14_IbLb1EEEEDaS10_S11_EUlS10_E_NS1_11comp_targetILNS1_3genE4ELNS1_11target_archE910ELNS1_3gpuE8ELNS1_3repE0EEENS1_30default_config_static_selectorELNS0_4arch9wavefront6targetE1EEEvT1_: ; @_ZN7rocprim17ROCPRIM_400000_NS6detail17trampoline_kernelINS0_14default_configENS1_27scan_by_key_config_selectorImiEEZZNS1_16scan_by_key_implILNS1_25lookback_scan_determinismE0ELb0ES3_N6thrust23THRUST_200600_302600_NS18transform_iteratorI9row_indexNS9_17counting_iteratorImNS9_11use_defaultESD_SD_EESD_SD_EENS9_6detail15normal_iteratorINS9_10device_ptrIiEEEESK_iNS9_4plusIvEENS9_8equal_toIvEEiEE10hipError_tPvRmT2_T3_T4_T5_mT6_T7_P12ihipStream_tbENKUlT_T0_E_clISt17integral_constantIbLb0EES14_IbLb1EEEEDaS10_S11_EUlS10_E_NS1_11comp_targetILNS1_3genE4ELNS1_11target_archE910ELNS1_3gpuE8ELNS1_3repE0EEENS1_30default_config_static_selectorELNS0_4arch9wavefront6targetE1EEEvT1_
; %bb.0:
	.section	.rodata,"a",@progbits
	.p2align	6, 0x0
	.amdhsa_kernel _ZN7rocprim17ROCPRIM_400000_NS6detail17trampoline_kernelINS0_14default_configENS1_27scan_by_key_config_selectorImiEEZZNS1_16scan_by_key_implILNS1_25lookback_scan_determinismE0ELb0ES3_N6thrust23THRUST_200600_302600_NS18transform_iteratorI9row_indexNS9_17counting_iteratorImNS9_11use_defaultESD_SD_EESD_SD_EENS9_6detail15normal_iteratorINS9_10device_ptrIiEEEESK_iNS9_4plusIvEENS9_8equal_toIvEEiEE10hipError_tPvRmT2_T3_T4_T5_mT6_T7_P12ihipStream_tbENKUlT_T0_E_clISt17integral_constantIbLb0EES14_IbLb1EEEEDaS10_S11_EUlS10_E_NS1_11comp_targetILNS1_3genE4ELNS1_11target_archE910ELNS1_3gpuE8ELNS1_3repE0EEENS1_30default_config_static_selectorELNS0_4arch9wavefront6targetE1EEEvT1_
		.amdhsa_group_segment_fixed_size 0
		.amdhsa_private_segment_fixed_size 0
		.amdhsa_kernarg_size 120
		.amdhsa_user_sgpr_count 6
		.amdhsa_user_sgpr_private_segment_buffer 1
		.amdhsa_user_sgpr_dispatch_ptr 0
		.amdhsa_user_sgpr_queue_ptr 0
		.amdhsa_user_sgpr_kernarg_segment_ptr 1
		.amdhsa_user_sgpr_dispatch_id 0
		.amdhsa_user_sgpr_flat_scratch_init 0
		.amdhsa_user_sgpr_private_segment_size 0
		.amdhsa_uses_dynamic_stack 0
		.amdhsa_system_sgpr_private_segment_wavefront_offset 0
		.amdhsa_system_sgpr_workgroup_id_x 1
		.amdhsa_system_sgpr_workgroup_id_y 0
		.amdhsa_system_sgpr_workgroup_id_z 0
		.amdhsa_system_sgpr_workgroup_info 0
		.amdhsa_system_vgpr_workitem_id 0
		.amdhsa_next_free_vgpr 1
		.amdhsa_next_free_sgpr 0
		.amdhsa_reserve_vcc 0
		.amdhsa_reserve_flat_scratch 0
		.amdhsa_float_round_mode_32 0
		.amdhsa_float_round_mode_16_64 0
		.amdhsa_float_denorm_mode_32 3
		.amdhsa_float_denorm_mode_16_64 3
		.amdhsa_dx10_clamp 1
		.amdhsa_ieee_mode 1
		.amdhsa_fp16_overflow 0
		.amdhsa_exception_fp_ieee_invalid_op 0
		.amdhsa_exception_fp_denorm_src 0
		.amdhsa_exception_fp_ieee_div_zero 0
		.amdhsa_exception_fp_ieee_overflow 0
		.amdhsa_exception_fp_ieee_underflow 0
		.amdhsa_exception_fp_ieee_inexact 0
		.amdhsa_exception_int_div_zero 0
	.end_amdhsa_kernel
	.section	.text._ZN7rocprim17ROCPRIM_400000_NS6detail17trampoline_kernelINS0_14default_configENS1_27scan_by_key_config_selectorImiEEZZNS1_16scan_by_key_implILNS1_25lookback_scan_determinismE0ELb0ES3_N6thrust23THRUST_200600_302600_NS18transform_iteratorI9row_indexNS9_17counting_iteratorImNS9_11use_defaultESD_SD_EESD_SD_EENS9_6detail15normal_iteratorINS9_10device_ptrIiEEEESK_iNS9_4plusIvEENS9_8equal_toIvEEiEE10hipError_tPvRmT2_T3_T4_T5_mT6_T7_P12ihipStream_tbENKUlT_T0_E_clISt17integral_constantIbLb0EES14_IbLb1EEEEDaS10_S11_EUlS10_E_NS1_11comp_targetILNS1_3genE4ELNS1_11target_archE910ELNS1_3gpuE8ELNS1_3repE0EEENS1_30default_config_static_selectorELNS0_4arch9wavefront6targetE1EEEvT1_,"axG",@progbits,_ZN7rocprim17ROCPRIM_400000_NS6detail17trampoline_kernelINS0_14default_configENS1_27scan_by_key_config_selectorImiEEZZNS1_16scan_by_key_implILNS1_25lookback_scan_determinismE0ELb0ES3_N6thrust23THRUST_200600_302600_NS18transform_iteratorI9row_indexNS9_17counting_iteratorImNS9_11use_defaultESD_SD_EESD_SD_EENS9_6detail15normal_iteratorINS9_10device_ptrIiEEEESK_iNS9_4plusIvEENS9_8equal_toIvEEiEE10hipError_tPvRmT2_T3_T4_T5_mT6_T7_P12ihipStream_tbENKUlT_T0_E_clISt17integral_constantIbLb0EES14_IbLb1EEEEDaS10_S11_EUlS10_E_NS1_11comp_targetILNS1_3genE4ELNS1_11target_archE910ELNS1_3gpuE8ELNS1_3repE0EEENS1_30default_config_static_selectorELNS0_4arch9wavefront6targetE1EEEvT1_,comdat
.Lfunc_end39:
	.size	_ZN7rocprim17ROCPRIM_400000_NS6detail17trampoline_kernelINS0_14default_configENS1_27scan_by_key_config_selectorImiEEZZNS1_16scan_by_key_implILNS1_25lookback_scan_determinismE0ELb0ES3_N6thrust23THRUST_200600_302600_NS18transform_iteratorI9row_indexNS9_17counting_iteratorImNS9_11use_defaultESD_SD_EESD_SD_EENS9_6detail15normal_iteratorINS9_10device_ptrIiEEEESK_iNS9_4plusIvEENS9_8equal_toIvEEiEE10hipError_tPvRmT2_T3_T4_T5_mT6_T7_P12ihipStream_tbENKUlT_T0_E_clISt17integral_constantIbLb0EES14_IbLb1EEEEDaS10_S11_EUlS10_E_NS1_11comp_targetILNS1_3genE4ELNS1_11target_archE910ELNS1_3gpuE8ELNS1_3repE0EEENS1_30default_config_static_selectorELNS0_4arch9wavefront6targetE1EEEvT1_, .Lfunc_end39-_ZN7rocprim17ROCPRIM_400000_NS6detail17trampoline_kernelINS0_14default_configENS1_27scan_by_key_config_selectorImiEEZZNS1_16scan_by_key_implILNS1_25lookback_scan_determinismE0ELb0ES3_N6thrust23THRUST_200600_302600_NS18transform_iteratorI9row_indexNS9_17counting_iteratorImNS9_11use_defaultESD_SD_EESD_SD_EENS9_6detail15normal_iteratorINS9_10device_ptrIiEEEESK_iNS9_4plusIvEENS9_8equal_toIvEEiEE10hipError_tPvRmT2_T3_T4_T5_mT6_T7_P12ihipStream_tbENKUlT_T0_E_clISt17integral_constantIbLb0EES14_IbLb1EEEEDaS10_S11_EUlS10_E_NS1_11comp_targetILNS1_3genE4ELNS1_11target_archE910ELNS1_3gpuE8ELNS1_3repE0EEENS1_30default_config_static_selectorELNS0_4arch9wavefront6targetE1EEEvT1_
                                        ; -- End function
	.set _ZN7rocprim17ROCPRIM_400000_NS6detail17trampoline_kernelINS0_14default_configENS1_27scan_by_key_config_selectorImiEEZZNS1_16scan_by_key_implILNS1_25lookback_scan_determinismE0ELb0ES3_N6thrust23THRUST_200600_302600_NS18transform_iteratorI9row_indexNS9_17counting_iteratorImNS9_11use_defaultESD_SD_EESD_SD_EENS9_6detail15normal_iteratorINS9_10device_ptrIiEEEESK_iNS9_4plusIvEENS9_8equal_toIvEEiEE10hipError_tPvRmT2_T3_T4_T5_mT6_T7_P12ihipStream_tbENKUlT_T0_E_clISt17integral_constantIbLb0EES14_IbLb1EEEEDaS10_S11_EUlS10_E_NS1_11comp_targetILNS1_3genE4ELNS1_11target_archE910ELNS1_3gpuE8ELNS1_3repE0EEENS1_30default_config_static_selectorELNS0_4arch9wavefront6targetE1EEEvT1_.num_vgpr, 0
	.set _ZN7rocprim17ROCPRIM_400000_NS6detail17trampoline_kernelINS0_14default_configENS1_27scan_by_key_config_selectorImiEEZZNS1_16scan_by_key_implILNS1_25lookback_scan_determinismE0ELb0ES3_N6thrust23THRUST_200600_302600_NS18transform_iteratorI9row_indexNS9_17counting_iteratorImNS9_11use_defaultESD_SD_EESD_SD_EENS9_6detail15normal_iteratorINS9_10device_ptrIiEEEESK_iNS9_4plusIvEENS9_8equal_toIvEEiEE10hipError_tPvRmT2_T3_T4_T5_mT6_T7_P12ihipStream_tbENKUlT_T0_E_clISt17integral_constantIbLb0EES14_IbLb1EEEEDaS10_S11_EUlS10_E_NS1_11comp_targetILNS1_3genE4ELNS1_11target_archE910ELNS1_3gpuE8ELNS1_3repE0EEENS1_30default_config_static_selectorELNS0_4arch9wavefront6targetE1EEEvT1_.num_agpr, 0
	.set _ZN7rocprim17ROCPRIM_400000_NS6detail17trampoline_kernelINS0_14default_configENS1_27scan_by_key_config_selectorImiEEZZNS1_16scan_by_key_implILNS1_25lookback_scan_determinismE0ELb0ES3_N6thrust23THRUST_200600_302600_NS18transform_iteratorI9row_indexNS9_17counting_iteratorImNS9_11use_defaultESD_SD_EESD_SD_EENS9_6detail15normal_iteratorINS9_10device_ptrIiEEEESK_iNS9_4plusIvEENS9_8equal_toIvEEiEE10hipError_tPvRmT2_T3_T4_T5_mT6_T7_P12ihipStream_tbENKUlT_T0_E_clISt17integral_constantIbLb0EES14_IbLb1EEEEDaS10_S11_EUlS10_E_NS1_11comp_targetILNS1_3genE4ELNS1_11target_archE910ELNS1_3gpuE8ELNS1_3repE0EEENS1_30default_config_static_selectorELNS0_4arch9wavefront6targetE1EEEvT1_.numbered_sgpr, 0
	.set _ZN7rocprim17ROCPRIM_400000_NS6detail17trampoline_kernelINS0_14default_configENS1_27scan_by_key_config_selectorImiEEZZNS1_16scan_by_key_implILNS1_25lookback_scan_determinismE0ELb0ES3_N6thrust23THRUST_200600_302600_NS18transform_iteratorI9row_indexNS9_17counting_iteratorImNS9_11use_defaultESD_SD_EESD_SD_EENS9_6detail15normal_iteratorINS9_10device_ptrIiEEEESK_iNS9_4plusIvEENS9_8equal_toIvEEiEE10hipError_tPvRmT2_T3_T4_T5_mT6_T7_P12ihipStream_tbENKUlT_T0_E_clISt17integral_constantIbLb0EES14_IbLb1EEEEDaS10_S11_EUlS10_E_NS1_11comp_targetILNS1_3genE4ELNS1_11target_archE910ELNS1_3gpuE8ELNS1_3repE0EEENS1_30default_config_static_selectorELNS0_4arch9wavefront6targetE1EEEvT1_.num_named_barrier, 0
	.set _ZN7rocprim17ROCPRIM_400000_NS6detail17trampoline_kernelINS0_14default_configENS1_27scan_by_key_config_selectorImiEEZZNS1_16scan_by_key_implILNS1_25lookback_scan_determinismE0ELb0ES3_N6thrust23THRUST_200600_302600_NS18transform_iteratorI9row_indexNS9_17counting_iteratorImNS9_11use_defaultESD_SD_EESD_SD_EENS9_6detail15normal_iteratorINS9_10device_ptrIiEEEESK_iNS9_4plusIvEENS9_8equal_toIvEEiEE10hipError_tPvRmT2_T3_T4_T5_mT6_T7_P12ihipStream_tbENKUlT_T0_E_clISt17integral_constantIbLb0EES14_IbLb1EEEEDaS10_S11_EUlS10_E_NS1_11comp_targetILNS1_3genE4ELNS1_11target_archE910ELNS1_3gpuE8ELNS1_3repE0EEENS1_30default_config_static_selectorELNS0_4arch9wavefront6targetE1EEEvT1_.private_seg_size, 0
	.set _ZN7rocprim17ROCPRIM_400000_NS6detail17trampoline_kernelINS0_14default_configENS1_27scan_by_key_config_selectorImiEEZZNS1_16scan_by_key_implILNS1_25lookback_scan_determinismE0ELb0ES3_N6thrust23THRUST_200600_302600_NS18transform_iteratorI9row_indexNS9_17counting_iteratorImNS9_11use_defaultESD_SD_EESD_SD_EENS9_6detail15normal_iteratorINS9_10device_ptrIiEEEESK_iNS9_4plusIvEENS9_8equal_toIvEEiEE10hipError_tPvRmT2_T3_T4_T5_mT6_T7_P12ihipStream_tbENKUlT_T0_E_clISt17integral_constantIbLb0EES14_IbLb1EEEEDaS10_S11_EUlS10_E_NS1_11comp_targetILNS1_3genE4ELNS1_11target_archE910ELNS1_3gpuE8ELNS1_3repE0EEENS1_30default_config_static_selectorELNS0_4arch9wavefront6targetE1EEEvT1_.uses_vcc, 0
	.set _ZN7rocprim17ROCPRIM_400000_NS6detail17trampoline_kernelINS0_14default_configENS1_27scan_by_key_config_selectorImiEEZZNS1_16scan_by_key_implILNS1_25lookback_scan_determinismE0ELb0ES3_N6thrust23THRUST_200600_302600_NS18transform_iteratorI9row_indexNS9_17counting_iteratorImNS9_11use_defaultESD_SD_EESD_SD_EENS9_6detail15normal_iteratorINS9_10device_ptrIiEEEESK_iNS9_4plusIvEENS9_8equal_toIvEEiEE10hipError_tPvRmT2_T3_T4_T5_mT6_T7_P12ihipStream_tbENKUlT_T0_E_clISt17integral_constantIbLb0EES14_IbLb1EEEEDaS10_S11_EUlS10_E_NS1_11comp_targetILNS1_3genE4ELNS1_11target_archE910ELNS1_3gpuE8ELNS1_3repE0EEENS1_30default_config_static_selectorELNS0_4arch9wavefront6targetE1EEEvT1_.uses_flat_scratch, 0
	.set _ZN7rocprim17ROCPRIM_400000_NS6detail17trampoline_kernelINS0_14default_configENS1_27scan_by_key_config_selectorImiEEZZNS1_16scan_by_key_implILNS1_25lookback_scan_determinismE0ELb0ES3_N6thrust23THRUST_200600_302600_NS18transform_iteratorI9row_indexNS9_17counting_iteratorImNS9_11use_defaultESD_SD_EESD_SD_EENS9_6detail15normal_iteratorINS9_10device_ptrIiEEEESK_iNS9_4plusIvEENS9_8equal_toIvEEiEE10hipError_tPvRmT2_T3_T4_T5_mT6_T7_P12ihipStream_tbENKUlT_T0_E_clISt17integral_constantIbLb0EES14_IbLb1EEEEDaS10_S11_EUlS10_E_NS1_11comp_targetILNS1_3genE4ELNS1_11target_archE910ELNS1_3gpuE8ELNS1_3repE0EEENS1_30default_config_static_selectorELNS0_4arch9wavefront6targetE1EEEvT1_.has_dyn_sized_stack, 0
	.set _ZN7rocprim17ROCPRIM_400000_NS6detail17trampoline_kernelINS0_14default_configENS1_27scan_by_key_config_selectorImiEEZZNS1_16scan_by_key_implILNS1_25lookback_scan_determinismE0ELb0ES3_N6thrust23THRUST_200600_302600_NS18transform_iteratorI9row_indexNS9_17counting_iteratorImNS9_11use_defaultESD_SD_EESD_SD_EENS9_6detail15normal_iteratorINS9_10device_ptrIiEEEESK_iNS9_4plusIvEENS9_8equal_toIvEEiEE10hipError_tPvRmT2_T3_T4_T5_mT6_T7_P12ihipStream_tbENKUlT_T0_E_clISt17integral_constantIbLb0EES14_IbLb1EEEEDaS10_S11_EUlS10_E_NS1_11comp_targetILNS1_3genE4ELNS1_11target_archE910ELNS1_3gpuE8ELNS1_3repE0EEENS1_30default_config_static_selectorELNS0_4arch9wavefront6targetE1EEEvT1_.has_recursion, 0
	.set _ZN7rocprim17ROCPRIM_400000_NS6detail17trampoline_kernelINS0_14default_configENS1_27scan_by_key_config_selectorImiEEZZNS1_16scan_by_key_implILNS1_25lookback_scan_determinismE0ELb0ES3_N6thrust23THRUST_200600_302600_NS18transform_iteratorI9row_indexNS9_17counting_iteratorImNS9_11use_defaultESD_SD_EESD_SD_EENS9_6detail15normal_iteratorINS9_10device_ptrIiEEEESK_iNS9_4plusIvEENS9_8equal_toIvEEiEE10hipError_tPvRmT2_T3_T4_T5_mT6_T7_P12ihipStream_tbENKUlT_T0_E_clISt17integral_constantIbLb0EES14_IbLb1EEEEDaS10_S11_EUlS10_E_NS1_11comp_targetILNS1_3genE4ELNS1_11target_archE910ELNS1_3gpuE8ELNS1_3repE0EEENS1_30default_config_static_selectorELNS0_4arch9wavefront6targetE1EEEvT1_.has_indirect_call, 0
	.section	.AMDGPU.csdata,"",@progbits
; Kernel info:
; codeLenInByte = 0
; TotalNumSgprs: 4
; NumVgprs: 0
; ScratchSize: 0
; MemoryBound: 0
; FloatMode: 240
; IeeeMode: 1
; LDSByteSize: 0 bytes/workgroup (compile time only)
; SGPRBlocks: 0
; VGPRBlocks: 0
; NumSGPRsForWavesPerEU: 4
; NumVGPRsForWavesPerEU: 1
; Occupancy: 10
; WaveLimiterHint : 0
; COMPUTE_PGM_RSRC2:SCRATCH_EN: 0
; COMPUTE_PGM_RSRC2:USER_SGPR: 6
; COMPUTE_PGM_RSRC2:TRAP_HANDLER: 0
; COMPUTE_PGM_RSRC2:TGID_X_EN: 1
; COMPUTE_PGM_RSRC2:TGID_Y_EN: 0
; COMPUTE_PGM_RSRC2:TGID_Z_EN: 0
; COMPUTE_PGM_RSRC2:TIDIG_COMP_CNT: 0
	.section	.text._ZN7rocprim17ROCPRIM_400000_NS6detail17trampoline_kernelINS0_14default_configENS1_27scan_by_key_config_selectorImiEEZZNS1_16scan_by_key_implILNS1_25lookback_scan_determinismE0ELb0ES3_N6thrust23THRUST_200600_302600_NS18transform_iteratorI9row_indexNS9_17counting_iteratorImNS9_11use_defaultESD_SD_EESD_SD_EENS9_6detail15normal_iteratorINS9_10device_ptrIiEEEESK_iNS9_4plusIvEENS9_8equal_toIvEEiEE10hipError_tPvRmT2_T3_T4_T5_mT6_T7_P12ihipStream_tbENKUlT_T0_E_clISt17integral_constantIbLb0EES14_IbLb1EEEEDaS10_S11_EUlS10_E_NS1_11comp_targetILNS1_3genE3ELNS1_11target_archE908ELNS1_3gpuE7ELNS1_3repE0EEENS1_30default_config_static_selectorELNS0_4arch9wavefront6targetE1EEEvT1_,"axG",@progbits,_ZN7rocprim17ROCPRIM_400000_NS6detail17trampoline_kernelINS0_14default_configENS1_27scan_by_key_config_selectorImiEEZZNS1_16scan_by_key_implILNS1_25lookback_scan_determinismE0ELb0ES3_N6thrust23THRUST_200600_302600_NS18transform_iteratorI9row_indexNS9_17counting_iteratorImNS9_11use_defaultESD_SD_EESD_SD_EENS9_6detail15normal_iteratorINS9_10device_ptrIiEEEESK_iNS9_4plusIvEENS9_8equal_toIvEEiEE10hipError_tPvRmT2_T3_T4_T5_mT6_T7_P12ihipStream_tbENKUlT_T0_E_clISt17integral_constantIbLb0EES14_IbLb1EEEEDaS10_S11_EUlS10_E_NS1_11comp_targetILNS1_3genE3ELNS1_11target_archE908ELNS1_3gpuE7ELNS1_3repE0EEENS1_30default_config_static_selectorELNS0_4arch9wavefront6targetE1EEEvT1_,comdat
	.protected	_ZN7rocprim17ROCPRIM_400000_NS6detail17trampoline_kernelINS0_14default_configENS1_27scan_by_key_config_selectorImiEEZZNS1_16scan_by_key_implILNS1_25lookback_scan_determinismE0ELb0ES3_N6thrust23THRUST_200600_302600_NS18transform_iteratorI9row_indexNS9_17counting_iteratorImNS9_11use_defaultESD_SD_EESD_SD_EENS9_6detail15normal_iteratorINS9_10device_ptrIiEEEESK_iNS9_4plusIvEENS9_8equal_toIvEEiEE10hipError_tPvRmT2_T3_T4_T5_mT6_T7_P12ihipStream_tbENKUlT_T0_E_clISt17integral_constantIbLb0EES14_IbLb1EEEEDaS10_S11_EUlS10_E_NS1_11comp_targetILNS1_3genE3ELNS1_11target_archE908ELNS1_3gpuE7ELNS1_3repE0EEENS1_30default_config_static_selectorELNS0_4arch9wavefront6targetE1EEEvT1_ ; -- Begin function _ZN7rocprim17ROCPRIM_400000_NS6detail17trampoline_kernelINS0_14default_configENS1_27scan_by_key_config_selectorImiEEZZNS1_16scan_by_key_implILNS1_25lookback_scan_determinismE0ELb0ES3_N6thrust23THRUST_200600_302600_NS18transform_iteratorI9row_indexNS9_17counting_iteratorImNS9_11use_defaultESD_SD_EESD_SD_EENS9_6detail15normal_iteratorINS9_10device_ptrIiEEEESK_iNS9_4plusIvEENS9_8equal_toIvEEiEE10hipError_tPvRmT2_T3_T4_T5_mT6_T7_P12ihipStream_tbENKUlT_T0_E_clISt17integral_constantIbLb0EES14_IbLb1EEEEDaS10_S11_EUlS10_E_NS1_11comp_targetILNS1_3genE3ELNS1_11target_archE908ELNS1_3gpuE7ELNS1_3repE0EEENS1_30default_config_static_selectorELNS0_4arch9wavefront6targetE1EEEvT1_
	.globl	_ZN7rocprim17ROCPRIM_400000_NS6detail17trampoline_kernelINS0_14default_configENS1_27scan_by_key_config_selectorImiEEZZNS1_16scan_by_key_implILNS1_25lookback_scan_determinismE0ELb0ES3_N6thrust23THRUST_200600_302600_NS18transform_iteratorI9row_indexNS9_17counting_iteratorImNS9_11use_defaultESD_SD_EESD_SD_EENS9_6detail15normal_iteratorINS9_10device_ptrIiEEEESK_iNS9_4plusIvEENS9_8equal_toIvEEiEE10hipError_tPvRmT2_T3_T4_T5_mT6_T7_P12ihipStream_tbENKUlT_T0_E_clISt17integral_constantIbLb0EES14_IbLb1EEEEDaS10_S11_EUlS10_E_NS1_11comp_targetILNS1_3genE3ELNS1_11target_archE908ELNS1_3gpuE7ELNS1_3repE0EEENS1_30default_config_static_selectorELNS0_4arch9wavefront6targetE1EEEvT1_
	.p2align	8
	.type	_ZN7rocprim17ROCPRIM_400000_NS6detail17trampoline_kernelINS0_14default_configENS1_27scan_by_key_config_selectorImiEEZZNS1_16scan_by_key_implILNS1_25lookback_scan_determinismE0ELb0ES3_N6thrust23THRUST_200600_302600_NS18transform_iteratorI9row_indexNS9_17counting_iteratorImNS9_11use_defaultESD_SD_EESD_SD_EENS9_6detail15normal_iteratorINS9_10device_ptrIiEEEESK_iNS9_4plusIvEENS9_8equal_toIvEEiEE10hipError_tPvRmT2_T3_T4_T5_mT6_T7_P12ihipStream_tbENKUlT_T0_E_clISt17integral_constantIbLb0EES14_IbLb1EEEEDaS10_S11_EUlS10_E_NS1_11comp_targetILNS1_3genE3ELNS1_11target_archE908ELNS1_3gpuE7ELNS1_3repE0EEENS1_30default_config_static_selectorELNS0_4arch9wavefront6targetE1EEEvT1_,@function
_ZN7rocprim17ROCPRIM_400000_NS6detail17trampoline_kernelINS0_14default_configENS1_27scan_by_key_config_selectorImiEEZZNS1_16scan_by_key_implILNS1_25lookback_scan_determinismE0ELb0ES3_N6thrust23THRUST_200600_302600_NS18transform_iteratorI9row_indexNS9_17counting_iteratorImNS9_11use_defaultESD_SD_EESD_SD_EENS9_6detail15normal_iteratorINS9_10device_ptrIiEEEESK_iNS9_4plusIvEENS9_8equal_toIvEEiEE10hipError_tPvRmT2_T3_T4_T5_mT6_T7_P12ihipStream_tbENKUlT_T0_E_clISt17integral_constantIbLb0EES14_IbLb1EEEEDaS10_S11_EUlS10_E_NS1_11comp_targetILNS1_3genE3ELNS1_11target_archE908ELNS1_3gpuE7ELNS1_3repE0EEENS1_30default_config_static_selectorELNS0_4arch9wavefront6targetE1EEEvT1_: ; @_ZN7rocprim17ROCPRIM_400000_NS6detail17trampoline_kernelINS0_14default_configENS1_27scan_by_key_config_selectorImiEEZZNS1_16scan_by_key_implILNS1_25lookback_scan_determinismE0ELb0ES3_N6thrust23THRUST_200600_302600_NS18transform_iteratorI9row_indexNS9_17counting_iteratorImNS9_11use_defaultESD_SD_EESD_SD_EENS9_6detail15normal_iteratorINS9_10device_ptrIiEEEESK_iNS9_4plusIvEENS9_8equal_toIvEEiEE10hipError_tPvRmT2_T3_T4_T5_mT6_T7_P12ihipStream_tbENKUlT_T0_E_clISt17integral_constantIbLb0EES14_IbLb1EEEEDaS10_S11_EUlS10_E_NS1_11comp_targetILNS1_3genE3ELNS1_11target_archE908ELNS1_3gpuE7ELNS1_3repE0EEENS1_30default_config_static_selectorELNS0_4arch9wavefront6targetE1EEEvT1_
; %bb.0:
	.section	.rodata,"a",@progbits
	.p2align	6, 0x0
	.amdhsa_kernel _ZN7rocprim17ROCPRIM_400000_NS6detail17trampoline_kernelINS0_14default_configENS1_27scan_by_key_config_selectorImiEEZZNS1_16scan_by_key_implILNS1_25lookback_scan_determinismE0ELb0ES3_N6thrust23THRUST_200600_302600_NS18transform_iteratorI9row_indexNS9_17counting_iteratorImNS9_11use_defaultESD_SD_EESD_SD_EENS9_6detail15normal_iteratorINS9_10device_ptrIiEEEESK_iNS9_4plusIvEENS9_8equal_toIvEEiEE10hipError_tPvRmT2_T3_T4_T5_mT6_T7_P12ihipStream_tbENKUlT_T0_E_clISt17integral_constantIbLb0EES14_IbLb1EEEEDaS10_S11_EUlS10_E_NS1_11comp_targetILNS1_3genE3ELNS1_11target_archE908ELNS1_3gpuE7ELNS1_3repE0EEENS1_30default_config_static_selectorELNS0_4arch9wavefront6targetE1EEEvT1_
		.amdhsa_group_segment_fixed_size 0
		.amdhsa_private_segment_fixed_size 0
		.amdhsa_kernarg_size 120
		.amdhsa_user_sgpr_count 6
		.amdhsa_user_sgpr_private_segment_buffer 1
		.amdhsa_user_sgpr_dispatch_ptr 0
		.amdhsa_user_sgpr_queue_ptr 0
		.amdhsa_user_sgpr_kernarg_segment_ptr 1
		.amdhsa_user_sgpr_dispatch_id 0
		.amdhsa_user_sgpr_flat_scratch_init 0
		.amdhsa_user_sgpr_private_segment_size 0
		.amdhsa_uses_dynamic_stack 0
		.amdhsa_system_sgpr_private_segment_wavefront_offset 0
		.amdhsa_system_sgpr_workgroup_id_x 1
		.amdhsa_system_sgpr_workgroup_id_y 0
		.amdhsa_system_sgpr_workgroup_id_z 0
		.amdhsa_system_sgpr_workgroup_info 0
		.amdhsa_system_vgpr_workitem_id 0
		.amdhsa_next_free_vgpr 1
		.amdhsa_next_free_sgpr 0
		.amdhsa_reserve_vcc 0
		.amdhsa_reserve_flat_scratch 0
		.amdhsa_float_round_mode_32 0
		.amdhsa_float_round_mode_16_64 0
		.amdhsa_float_denorm_mode_32 3
		.amdhsa_float_denorm_mode_16_64 3
		.amdhsa_dx10_clamp 1
		.amdhsa_ieee_mode 1
		.amdhsa_fp16_overflow 0
		.amdhsa_exception_fp_ieee_invalid_op 0
		.amdhsa_exception_fp_denorm_src 0
		.amdhsa_exception_fp_ieee_div_zero 0
		.amdhsa_exception_fp_ieee_overflow 0
		.amdhsa_exception_fp_ieee_underflow 0
		.amdhsa_exception_fp_ieee_inexact 0
		.amdhsa_exception_int_div_zero 0
	.end_amdhsa_kernel
	.section	.text._ZN7rocprim17ROCPRIM_400000_NS6detail17trampoline_kernelINS0_14default_configENS1_27scan_by_key_config_selectorImiEEZZNS1_16scan_by_key_implILNS1_25lookback_scan_determinismE0ELb0ES3_N6thrust23THRUST_200600_302600_NS18transform_iteratorI9row_indexNS9_17counting_iteratorImNS9_11use_defaultESD_SD_EESD_SD_EENS9_6detail15normal_iteratorINS9_10device_ptrIiEEEESK_iNS9_4plusIvEENS9_8equal_toIvEEiEE10hipError_tPvRmT2_T3_T4_T5_mT6_T7_P12ihipStream_tbENKUlT_T0_E_clISt17integral_constantIbLb0EES14_IbLb1EEEEDaS10_S11_EUlS10_E_NS1_11comp_targetILNS1_3genE3ELNS1_11target_archE908ELNS1_3gpuE7ELNS1_3repE0EEENS1_30default_config_static_selectorELNS0_4arch9wavefront6targetE1EEEvT1_,"axG",@progbits,_ZN7rocprim17ROCPRIM_400000_NS6detail17trampoline_kernelINS0_14default_configENS1_27scan_by_key_config_selectorImiEEZZNS1_16scan_by_key_implILNS1_25lookback_scan_determinismE0ELb0ES3_N6thrust23THRUST_200600_302600_NS18transform_iteratorI9row_indexNS9_17counting_iteratorImNS9_11use_defaultESD_SD_EESD_SD_EENS9_6detail15normal_iteratorINS9_10device_ptrIiEEEESK_iNS9_4plusIvEENS9_8equal_toIvEEiEE10hipError_tPvRmT2_T3_T4_T5_mT6_T7_P12ihipStream_tbENKUlT_T0_E_clISt17integral_constantIbLb0EES14_IbLb1EEEEDaS10_S11_EUlS10_E_NS1_11comp_targetILNS1_3genE3ELNS1_11target_archE908ELNS1_3gpuE7ELNS1_3repE0EEENS1_30default_config_static_selectorELNS0_4arch9wavefront6targetE1EEEvT1_,comdat
.Lfunc_end40:
	.size	_ZN7rocprim17ROCPRIM_400000_NS6detail17trampoline_kernelINS0_14default_configENS1_27scan_by_key_config_selectorImiEEZZNS1_16scan_by_key_implILNS1_25lookback_scan_determinismE0ELb0ES3_N6thrust23THRUST_200600_302600_NS18transform_iteratorI9row_indexNS9_17counting_iteratorImNS9_11use_defaultESD_SD_EESD_SD_EENS9_6detail15normal_iteratorINS9_10device_ptrIiEEEESK_iNS9_4plusIvEENS9_8equal_toIvEEiEE10hipError_tPvRmT2_T3_T4_T5_mT6_T7_P12ihipStream_tbENKUlT_T0_E_clISt17integral_constantIbLb0EES14_IbLb1EEEEDaS10_S11_EUlS10_E_NS1_11comp_targetILNS1_3genE3ELNS1_11target_archE908ELNS1_3gpuE7ELNS1_3repE0EEENS1_30default_config_static_selectorELNS0_4arch9wavefront6targetE1EEEvT1_, .Lfunc_end40-_ZN7rocprim17ROCPRIM_400000_NS6detail17trampoline_kernelINS0_14default_configENS1_27scan_by_key_config_selectorImiEEZZNS1_16scan_by_key_implILNS1_25lookback_scan_determinismE0ELb0ES3_N6thrust23THRUST_200600_302600_NS18transform_iteratorI9row_indexNS9_17counting_iteratorImNS9_11use_defaultESD_SD_EESD_SD_EENS9_6detail15normal_iteratorINS9_10device_ptrIiEEEESK_iNS9_4plusIvEENS9_8equal_toIvEEiEE10hipError_tPvRmT2_T3_T4_T5_mT6_T7_P12ihipStream_tbENKUlT_T0_E_clISt17integral_constantIbLb0EES14_IbLb1EEEEDaS10_S11_EUlS10_E_NS1_11comp_targetILNS1_3genE3ELNS1_11target_archE908ELNS1_3gpuE7ELNS1_3repE0EEENS1_30default_config_static_selectorELNS0_4arch9wavefront6targetE1EEEvT1_
                                        ; -- End function
	.set _ZN7rocprim17ROCPRIM_400000_NS6detail17trampoline_kernelINS0_14default_configENS1_27scan_by_key_config_selectorImiEEZZNS1_16scan_by_key_implILNS1_25lookback_scan_determinismE0ELb0ES3_N6thrust23THRUST_200600_302600_NS18transform_iteratorI9row_indexNS9_17counting_iteratorImNS9_11use_defaultESD_SD_EESD_SD_EENS9_6detail15normal_iteratorINS9_10device_ptrIiEEEESK_iNS9_4plusIvEENS9_8equal_toIvEEiEE10hipError_tPvRmT2_T3_T4_T5_mT6_T7_P12ihipStream_tbENKUlT_T0_E_clISt17integral_constantIbLb0EES14_IbLb1EEEEDaS10_S11_EUlS10_E_NS1_11comp_targetILNS1_3genE3ELNS1_11target_archE908ELNS1_3gpuE7ELNS1_3repE0EEENS1_30default_config_static_selectorELNS0_4arch9wavefront6targetE1EEEvT1_.num_vgpr, 0
	.set _ZN7rocprim17ROCPRIM_400000_NS6detail17trampoline_kernelINS0_14default_configENS1_27scan_by_key_config_selectorImiEEZZNS1_16scan_by_key_implILNS1_25lookback_scan_determinismE0ELb0ES3_N6thrust23THRUST_200600_302600_NS18transform_iteratorI9row_indexNS9_17counting_iteratorImNS9_11use_defaultESD_SD_EESD_SD_EENS9_6detail15normal_iteratorINS9_10device_ptrIiEEEESK_iNS9_4plusIvEENS9_8equal_toIvEEiEE10hipError_tPvRmT2_T3_T4_T5_mT6_T7_P12ihipStream_tbENKUlT_T0_E_clISt17integral_constantIbLb0EES14_IbLb1EEEEDaS10_S11_EUlS10_E_NS1_11comp_targetILNS1_3genE3ELNS1_11target_archE908ELNS1_3gpuE7ELNS1_3repE0EEENS1_30default_config_static_selectorELNS0_4arch9wavefront6targetE1EEEvT1_.num_agpr, 0
	.set _ZN7rocprim17ROCPRIM_400000_NS6detail17trampoline_kernelINS0_14default_configENS1_27scan_by_key_config_selectorImiEEZZNS1_16scan_by_key_implILNS1_25lookback_scan_determinismE0ELb0ES3_N6thrust23THRUST_200600_302600_NS18transform_iteratorI9row_indexNS9_17counting_iteratorImNS9_11use_defaultESD_SD_EESD_SD_EENS9_6detail15normal_iteratorINS9_10device_ptrIiEEEESK_iNS9_4plusIvEENS9_8equal_toIvEEiEE10hipError_tPvRmT2_T3_T4_T5_mT6_T7_P12ihipStream_tbENKUlT_T0_E_clISt17integral_constantIbLb0EES14_IbLb1EEEEDaS10_S11_EUlS10_E_NS1_11comp_targetILNS1_3genE3ELNS1_11target_archE908ELNS1_3gpuE7ELNS1_3repE0EEENS1_30default_config_static_selectorELNS0_4arch9wavefront6targetE1EEEvT1_.numbered_sgpr, 0
	.set _ZN7rocprim17ROCPRIM_400000_NS6detail17trampoline_kernelINS0_14default_configENS1_27scan_by_key_config_selectorImiEEZZNS1_16scan_by_key_implILNS1_25lookback_scan_determinismE0ELb0ES3_N6thrust23THRUST_200600_302600_NS18transform_iteratorI9row_indexNS9_17counting_iteratorImNS9_11use_defaultESD_SD_EESD_SD_EENS9_6detail15normal_iteratorINS9_10device_ptrIiEEEESK_iNS9_4plusIvEENS9_8equal_toIvEEiEE10hipError_tPvRmT2_T3_T4_T5_mT6_T7_P12ihipStream_tbENKUlT_T0_E_clISt17integral_constantIbLb0EES14_IbLb1EEEEDaS10_S11_EUlS10_E_NS1_11comp_targetILNS1_3genE3ELNS1_11target_archE908ELNS1_3gpuE7ELNS1_3repE0EEENS1_30default_config_static_selectorELNS0_4arch9wavefront6targetE1EEEvT1_.num_named_barrier, 0
	.set _ZN7rocprim17ROCPRIM_400000_NS6detail17trampoline_kernelINS0_14default_configENS1_27scan_by_key_config_selectorImiEEZZNS1_16scan_by_key_implILNS1_25lookback_scan_determinismE0ELb0ES3_N6thrust23THRUST_200600_302600_NS18transform_iteratorI9row_indexNS9_17counting_iteratorImNS9_11use_defaultESD_SD_EESD_SD_EENS9_6detail15normal_iteratorINS9_10device_ptrIiEEEESK_iNS9_4plusIvEENS9_8equal_toIvEEiEE10hipError_tPvRmT2_T3_T4_T5_mT6_T7_P12ihipStream_tbENKUlT_T0_E_clISt17integral_constantIbLb0EES14_IbLb1EEEEDaS10_S11_EUlS10_E_NS1_11comp_targetILNS1_3genE3ELNS1_11target_archE908ELNS1_3gpuE7ELNS1_3repE0EEENS1_30default_config_static_selectorELNS0_4arch9wavefront6targetE1EEEvT1_.private_seg_size, 0
	.set _ZN7rocprim17ROCPRIM_400000_NS6detail17trampoline_kernelINS0_14default_configENS1_27scan_by_key_config_selectorImiEEZZNS1_16scan_by_key_implILNS1_25lookback_scan_determinismE0ELb0ES3_N6thrust23THRUST_200600_302600_NS18transform_iteratorI9row_indexNS9_17counting_iteratorImNS9_11use_defaultESD_SD_EESD_SD_EENS9_6detail15normal_iteratorINS9_10device_ptrIiEEEESK_iNS9_4plusIvEENS9_8equal_toIvEEiEE10hipError_tPvRmT2_T3_T4_T5_mT6_T7_P12ihipStream_tbENKUlT_T0_E_clISt17integral_constantIbLb0EES14_IbLb1EEEEDaS10_S11_EUlS10_E_NS1_11comp_targetILNS1_3genE3ELNS1_11target_archE908ELNS1_3gpuE7ELNS1_3repE0EEENS1_30default_config_static_selectorELNS0_4arch9wavefront6targetE1EEEvT1_.uses_vcc, 0
	.set _ZN7rocprim17ROCPRIM_400000_NS6detail17trampoline_kernelINS0_14default_configENS1_27scan_by_key_config_selectorImiEEZZNS1_16scan_by_key_implILNS1_25lookback_scan_determinismE0ELb0ES3_N6thrust23THRUST_200600_302600_NS18transform_iteratorI9row_indexNS9_17counting_iteratorImNS9_11use_defaultESD_SD_EESD_SD_EENS9_6detail15normal_iteratorINS9_10device_ptrIiEEEESK_iNS9_4plusIvEENS9_8equal_toIvEEiEE10hipError_tPvRmT2_T3_T4_T5_mT6_T7_P12ihipStream_tbENKUlT_T0_E_clISt17integral_constantIbLb0EES14_IbLb1EEEEDaS10_S11_EUlS10_E_NS1_11comp_targetILNS1_3genE3ELNS1_11target_archE908ELNS1_3gpuE7ELNS1_3repE0EEENS1_30default_config_static_selectorELNS0_4arch9wavefront6targetE1EEEvT1_.uses_flat_scratch, 0
	.set _ZN7rocprim17ROCPRIM_400000_NS6detail17trampoline_kernelINS0_14default_configENS1_27scan_by_key_config_selectorImiEEZZNS1_16scan_by_key_implILNS1_25lookback_scan_determinismE0ELb0ES3_N6thrust23THRUST_200600_302600_NS18transform_iteratorI9row_indexNS9_17counting_iteratorImNS9_11use_defaultESD_SD_EESD_SD_EENS9_6detail15normal_iteratorINS9_10device_ptrIiEEEESK_iNS9_4plusIvEENS9_8equal_toIvEEiEE10hipError_tPvRmT2_T3_T4_T5_mT6_T7_P12ihipStream_tbENKUlT_T0_E_clISt17integral_constantIbLb0EES14_IbLb1EEEEDaS10_S11_EUlS10_E_NS1_11comp_targetILNS1_3genE3ELNS1_11target_archE908ELNS1_3gpuE7ELNS1_3repE0EEENS1_30default_config_static_selectorELNS0_4arch9wavefront6targetE1EEEvT1_.has_dyn_sized_stack, 0
	.set _ZN7rocprim17ROCPRIM_400000_NS6detail17trampoline_kernelINS0_14default_configENS1_27scan_by_key_config_selectorImiEEZZNS1_16scan_by_key_implILNS1_25lookback_scan_determinismE0ELb0ES3_N6thrust23THRUST_200600_302600_NS18transform_iteratorI9row_indexNS9_17counting_iteratorImNS9_11use_defaultESD_SD_EESD_SD_EENS9_6detail15normal_iteratorINS9_10device_ptrIiEEEESK_iNS9_4plusIvEENS9_8equal_toIvEEiEE10hipError_tPvRmT2_T3_T4_T5_mT6_T7_P12ihipStream_tbENKUlT_T0_E_clISt17integral_constantIbLb0EES14_IbLb1EEEEDaS10_S11_EUlS10_E_NS1_11comp_targetILNS1_3genE3ELNS1_11target_archE908ELNS1_3gpuE7ELNS1_3repE0EEENS1_30default_config_static_selectorELNS0_4arch9wavefront6targetE1EEEvT1_.has_recursion, 0
	.set _ZN7rocprim17ROCPRIM_400000_NS6detail17trampoline_kernelINS0_14default_configENS1_27scan_by_key_config_selectorImiEEZZNS1_16scan_by_key_implILNS1_25lookback_scan_determinismE0ELb0ES3_N6thrust23THRUST_200600_302600_NS18transform_iteratorI9row_indexNS9_17counting_iteratorImNS9_11use_defaultESD_SD_EESD_SD_EENS9_6detail15normal_iteratorINS9_10device_ptrIiEEEESK_iNS9_4plusIvEENS9_8equal_toIvEEiEE10hipError_tPvRmT2_T3_T4_T5_mT6_T7_P12ihipStream_tbENKUlT_T0_E_clISt17integral_constantIbLb0EES14_IbLb1EEEEDaS10_S11_EUlS10_E_NS1_11comp_targetILNS1_3genE3ELNS1_11target_archE908ELNS1_3gpuE7ELNS1_3repE0EEENS1_30default_config_static_selectorELNS0_4arch9wavefront6targetE1EEEvT1_.has_indirect_call, 0
	.section	.AMDGPU.csdata,"",@progbits
; Kernel info:
; codeLenInByte = 0
; TotalNumSgprs: 4
; NumVgprs: 0
; ScratchSize: 0
; MemoryBound: 0
; FloatMode: 240
; IeeeMode: 1
; LDSByteSize: 0 bytes/workgroup (compile time only)
; SGPRBlocks: 0
; VGPRBlocks: 0
; NumSGPRsForWavesPerEU: 4
; NumVGPRsForWavesPerEU: 1
; Occupancy: 10
; WaveLimiterHint : 0
; COMPUTE_PGM_RSRC2:SCRATCH_EN: 0
; COMPUTE_PGM_RSRC2:USER_SGPR: 6
; COMPUTE_PGM_RSRC2:TRAP_HANDLER: 0
; COMPUTE_PGM_RSRC2:TGID_X_EN: 1
; COMPUTE_PGM_RSRC2:TGID_Y_EN: 0
; COMPUTE_PGM_RSRC2:TGID_Z_EN: 0
; COMPUTE_PGM_RSRC2:TIDIG_COMP_CNT: 0
	.section	.text._ZN7rocprim17ROCPRIM_400000_NS6detail17trampoline_kernelINS0_14default_configENS1_27scan_by_key_config_selectorImiEEZZNS1_16scan_by_key_implILNS1_25lookback_scan_determinismE0ELb0ES3_N6thrust23THRUST_200600_302600_NS18transform_iteratorI9row_indexNS9_17counting_iteratorImNS9_11use_defaultESD_SD_EESD_SD_EENS9_6detail15normal_iteratorINS9_10device_ptrIiEEEESK_iNS9_4plusIvEENS9_8equal_toIvEEiEE10hipError_tPvRmT2_T3_T4_T5_mT6_T7_P12ihipStream_tbENKUlT_T0_E_clISt17integral_constantIbLb0EES14_IbLb1EEEEDaS10_S11_EUlS10_E_NS1_11comp_targetILNS1_3genE2ELNS1_11target_archE906ELNS1_3gpuE6ELNS1_3repE0EEENS1_30default_config_static_selectorELNS0_4arch9wavefront6targetE1EEEvT1_,"axG",@progbits,_ZN7rocprim17ROCPRIM_400000_NS6detail17trampoline_kernelINS0_14default_configENS1_27scan_by_key_config_selectorImiEEZZNS1_16scan_by_key_implILNS1_25lookback_scan_determinismE0ELb0ES3_N6thrust23THRUST_200600_302600_NS18transform_iteratorI9row_indexNS9_17counting_iteratorImNS9_11use_defaultESD_SD_EESD_SD_EENS9_6detail15normal_iteratorINS9_10device_ptrIiEEEESK_iNS9_4plusIvEENS9_8equal_toIvEEiEE10hipError_tPvRmT2_T3_T4_T5_mT6_T7_P12ihipStream_tbENKUlT_T0_E_clISt17integral_constantIbLb0EES14_IbLb1EEEEDaS10_S11_EUlS10_E_NS1_11comp_targetILNS1_3genE2ELNS1_11target_archE906ELNS1_3gpuE6ELNS1_3repE0EEENS1_30default_config_static_selectorELNS0_4arch9wavefront6targetE1EEEvT1_,comdat
	.protected	_ZN7rocprim17ROCPRIM_400000_NS6detail17trampoline_kernelINS0_14default_configENS1_27scan_by_key_config_selectorImiEEZZNS1_16scan_by_key_implILNS1_25lookback_scan_determinismE0ELb0ES3_N6thrust23THRUST_200600_302600_NS18transform_iteratorI9row_indexNS9_17counting_iteratorImNS9_11use_defaultESD_SD_EESD_SD_EENS9_6detail15normal_iteratorINS9_10device_ptrIiEEEESK_iNS9_4plusIvEENS9_8equal_toIvEEiEE10hipError_tPvRmT2_T3_T4_T5_mT6_T7_P12ihipStream_tbENKUlT_T0_E_clISt17integral_constantIbLb0EES14_IbLb1EEEEDaS10_S11_EUlS10_E_NS1_11comp_targetILNS1_3genE2ELNS1_11target_archE906ELNS1_3gpuE6ELNS1_3repE0EEENS1_30default_config_static_selectorELNS0_4arch9wavefront6targetE1EEEvT1_ ; -- Begin function _ZN7rocprim17ROCPRIM_400000_NS6detail17trampoline_kernelINS0_14default_configENS1_27scan_by_key_config_selectorImiEEZZNS1_16scan_by_key_implILNS1_25lookback_scan_determinismE0ELb0ES3_N6thrust23THRUST_200600_302600_NS18transform_iteratorI9row_indexNS9_17counting_iteratorImNS9_11use_defaultESD_SD_EESD_SD_EENS9_6detail15normal_iteratorINS9_10device_ptrIiEEEESK_iNS9_4plusIvEENS9_8equal_toIvEEiEE10hipError_tPvRmT2_T3_T4_T5_mT6_T7_P12ihipStream_tbENKUlT_T0_E_clISt17integral_constantIbLb0EES14_IbLb1EEEEDaS10_S11_EUlS10_E_NS1_11comp_targetILNS1_3genE2ELNS1_11target_archE906ELNS1_3gpuE6ELNS1_3repE0EEENS1_30default_config_static_selectorELNS0_4arch9wavefront6targetE1EEEvT1_
	.globl	_ZN7rocprim17ROCPRIM_400000_NS6detail17trampoline_kernelINS0_14default_configENS1_27scan_by_key_config_selectorImiEEZZNS1_16scan_by_key_implILNS1_25lookback_scan_determinismE0ELb0ES3_N6thrust23THRUST_200600_302600_NS18transform_iteratorI9row_indexNS9_17counting_iteratorImNS9_11use_defaultESD_SD_EESD_SD_EENS9_6detail15normal_iteratorINS9_10device_ptrIiEEEESK_iNS9_4plusIvEENS9_8equal_toIvEEiEE10hipError_tPvRmT2_T3_T4_T5_mT6_T7_P12ihipStream_tbENKUlT_T0_E_clISt17integral_constantIbLb0EES14_IbLb1EEEEDaS10_S11_EUlS10_E_NS1_11comp_targetILNS1_3genE2ELNS1_11target_archE906ELNS1_3gpuE6ELNS1_3repE0EEENS1_30default_config_static_selectorELNS0_4arch9wavefront6targetE1EEEvT1_
	.p2align	8
	.type	_ZN7rocprim17ROCPRIM_400000_NS6detail17trampoline_kernelINS0_14default_configENS1_27scan_by_key_config_selectorImiEEZZNS1_16scan_by_key_implILNS1_25lookback_scan_determinismE0ELb0ES3_N6thrust23THRUST_200600_302600_NS18transform_iteratorI9row_indexNS9_17counting_iteratorImNS9_11use_defaultESD_SD_EESD_SD_EENS9_6detail15normal_iteratorINS9_10device_ptrIiEEEESK_iNS9_4plusIvEENS9_8equal_toIvEEiEE10hipError_tPvRmT2_T3_T4_T5_mT6_T7_P12ihipStream_tbENKUlT_T0_E_clISt17integral_constantIbLb0EES14_IbLb1EEEEDaS10_S11_EUlS10_E_NS1_11comp_targetILNS1_3genE2ELNS1_11target_archE906ELNS1_3gpuE6ELNS1_3repE0EEENS1_30default_config_static_selectorELNS0_4arch9wavefront6targetE1EEEvT1_,@function
_ZN7rocprim17ROCPRIM_400000_NS6detail17trampoline_kernelINS0_14default_configENS1_27scan_by_key_config_selectorImiEEZZNS1_16scan_by_key_implILNS1_25lookback_scan_determinismE0ELb0ES3_N6thrust23THRUST_200600_302600_NS18transform_iteratorI9row_indexNS9_17counting_iteratorImNS9_11use_defaultESD_SD_EESD_SD_EENS9_6detail15normal_iteratorINS9_10device_ptrIiEEEESK_iNS9_4plusIvEENS9_8equal_toIvEEiEE10hipError_tPvRmT2_T3_T4_T5_mT6_T7_P12ihipStream_tbENKUlT_T0_E_clISt17integral_constantIbLb0EES14_IbLb1EEEEDaS10_S11_EUlS10_E_NS1_11comp_targetILNS1_3genE2ELNS1_11target_archE906ELNS1_3gpuE6ELNS1_3repE0EEENS1_30default_config_static_selectorELNS0_4arch9wavefront6targetE1EEEvT1_: ; @_ZN7rocprim17ROCPRIM_400000_NS6detail17trampoline_kernelINS0_14default_configENS1_27scan_by_key_config_selectorImiEEZZNS1_16scan_by_key_implILNS1_25lookback_scan_determinismE0ELb0ES3_N6thrust23THRUST_200600_302600_NS18transform_iteratorI9row_indexNS9_17counting_iteratorImNS9_11use_defaultESD_SD_EESD_SD_EENS9_6detail15normal_iteratorINS9_10device_ptrIiEEEESK_iNS9_4plusIvEENS9_8equal_toIvEEiEE10hipError_tPvRmT2_T3_T4_T5_mT6_T7_P12ihipStream_tbENKUlT_T0_E_clISt17integral_constantIbLb0EES14_IbLb1EEEEDaS10_S11_EUlS10_E_NS1_11comp_targetILNS1_3genE2ELNS1_11target_archE906ELNS1_3gpuE6ELNS1_3repE0EEENS1_30default_config_static_selectorELNS0_4arch9wavefront6targetE1EEEvT1_
; %bb.0:
	s_load_dwordx8 s[48:55], s[4:5], 0x0
	s_load_dwordx2 s[38:39], s[4:5], 0x20
	s_load_dwordx4 s[56:59], s[4:5], 0x30
	s_load_dwordx2 s[60:61], s[4:5], 0x40
	s_load_dwordx2 s[6:7], s[4:5], 0x70
	s_load_dwordx8 s[40:47], s[4:5], 0x50
	v_cmp_ne_u32_e64 s[36:37], 0, v0
	v_cmp_eq_u32_e64 s[0:1], 0, v0
	s_and_saveexec_b64 s[2:3], s[0:1]
	s_cbranch_execz .LBB41_4
; %bb.1:
	s_mov_b64 s[10:11], exec
	v_mbcnt_lo_u32_b32 v1, s10, 0
	v_mbcnt_hi_u32_b32 v1, s11, v1
	v_cmp_eq_u32_e32 vcc, 0, v1
                                        ; implicit-def: $vgpr2
	s_and_saveexec_b64 s[8:9], vcc
	s_cbranch_execz .LBB41_3
; %bb.2:
	s_bcnt1_i32_b64 s10, s[10:11]
	v_mov_b32_e32 v2, 0
	v_mov_b32_e32 v3, s10
	s_waitcnt lgkmcnt(0)
	global_atomic_add v2, v2, v3, s[6:7] glc
.LBB41_3:
	s_or_b64 exec, exec, s[8:9]
	s_waitcnt vmcnt(0) lgkmcnt(0)
	v_readfirstlane_b32 s6, v2
	v_add_u32_e32 v1, s6, v1
	v_mov_b32_e32 v2, 0
	ds_write_b32 v2, v1
.LBB41_4:
	s_or_b64 exec, exec, s[2:3]
	s_load_dword s2, s[4:5], 0x48
	v_mov_b32_e32 v1, 0
	s_waitcnt lgkmcnt(0)
	s_barrier
	ds_read_b32 v1, v1
	s_add_u32 s3, s52, s48
	s_addc_u32 s4, s53, s49
	s_lshl_b64 s[48:49], s[52:53], 2
	s_add_u32 s5, s54, s48
	s_mul_i32 s6, s61, s2
	s_mul_hi_u32 s7, s60, s2
	s_addc_u32 s8, s55, s49
	s_add_i32 s9, s7, s6
	s_waitcnt lgkmcnt(0)
	v_readfirstlane_b32 s59, v1
	s_cmp_lg_u64 s[44:45], 0
	s_mul_i32 s6, s59, 0xe00
	s_cselect_b64 s[54:55], -1, 0
	s_mov_b32 s7, 0
	s_add_u32 s52, s3, s6
	s_addc_u32 s53, s4, 0
	s_lshl_b64 s[44:45], s[6:7], 2
	s_add_u32 s68, s5, s44
	s_mul_i32 s2, s60, s2
	s_addc_u32 s69, s8, s45
	s_add_u32 s62, s2, s59
	s_addc_u32 s63, s9, 0
	s_add_u32 s8, s40, -1
	s_addc_u32 s9, s41, -1
	v_mov_b32_e32 v1, s8
	v_mov_b32_e32 v2, s9
	v_cmp_ge_u64_e64 s[2:3], s[62:63], v[1:2]
	s_mov_b64 s[10:11], 0
	s_mov_b64 s[4:5], -1
	s_and_b64 vcc, exec, s[2:3]
	s_mul_i32 s33, s8, 0xfffff200
	s_barrier
	s_barrier
	s_cbranch_vccz .LBB41_95
; %bb.5:
	s_or_b64 s[4:5], s[52:53], s[50:51]
	s_mov_b32 s4, s7
	s_cmp_lg_u64 s[4:5], 0
	s_cbranch_scc0 .LBB41_96
; %bb.6:
	v_cvt_f32_u32_e32 v1, s50
	v_cvt_f32_u32_e32 v2, s51
	s_sub_u32 s8, 0, s50
	s_subb_u32 s9, 0, s51
	v_madmk_f32 v1, v2, 0x4f800000, v1
	v_rcp_f32_e32 v1, v1
	v_mul_f32_e32 v1, 0x5f7ffffc, v1
	v_mul_f32_e32 v2, 0x2f800000, v1
	v_trunc_f32_e32 v2, v2
	v_madmk_f32 v1, v2, 0xcf800000, v1
	v_cvt_u32_f32_e32 v2, v2
	v_cvt_u32_f32_e32 v1, v1
	v_readfirstlane_b32 s10, v2
	v_readfirstlane_b32 s6, v1
	s_mul_i32 s7, s8, s10
	s_mul_hi_u32 s12, s8, s6
	s_mul_i32 s11, s9, s6
	s_add_i32 s7, s12, s7
	s_add_i32 s7, s7, s11
	s_mul_i32 s13, s8, s6
	s_mul_i32 s12, s6, s7
	s_mul_hi_u32 s14, s6, s13
	s_mul_hi_u32 s11, s6, s7
	s_add_u32 s12, s14, s12
	s_addc_u32 s11, 0, s11
	s_mul_hi_u32 s15, s10, s13
	s_mul_i32 s13, s10, s13
	s_add_u32 s12, s12, s13
	s_mul_hi_u32 s14, s10, s7
	s_addc_u32 s11, s11, s15
	s_addc_u32 s12, s14, 0
	s_mul_i32 s7, s10, s7
	s_add_u32 s7, s11, s7
	s_addc_u32 s11, 0, s12
	s_add_u32 s12, s6, s7
	s_cselect_b64 s[6:7], -1, 0
	s_cmp_lg_u64 s[6:7], 0
	s_addc_u32 s10, s10, s11
	s_mul_i32 s6, s8, s10
	s_mul_hi_u32 s7, s8, s12
	s_add_i32 s6, s7, s6
	s_mul_i32 s9, s9, s12
	s_add_i32 s6, s6, s9
	s_mul_i32 s8, s8, s12
	s_mul_hi_u32 s9, s10, s8
	s_mul_i32 s11, s10, s8
	s_mul_i32 s14, s12, s6
	s_mul_hi_u32 s8, s12, s8
	s_mul_hi_u32 s13, s12, s6
	s_add_u32 s8, s8, s14
	s_addc_u32 s13, 0, s13
	s_add_u32 s8, s8, s11
	s_mul_hi_u32 s7, s10, s6
	s_addc_u32 s8, s13, s9
	s_addc_u32 s7, s7, 0
	s_mul_i32 s6, s10, s6
	s_add_u32 s6, s8, s6
	s_addc_u32 s8, 0, s7
	s_add_u32 s9, s12, s6
	s_cselect_b64 s[6:7], -1, 0
	s_cmp_lg_u64 s[6:7], 0
	s_addc_u32 s6, s10, s8
	s_mul_i32 s8, s52, s6
	s_mul_hi_u32 s10, s52, s9
	s_mul_hi_u32 s7, s52, s6
	s_add_u32 s8, s10, s8
	s_addc_u32 s7, 0, s7
	s_mul_hi_u32 s11, s53, s9
	s_mul_i32 s9, s53, s9
	s_add_u32 s8, s8, s9
	s_mul_hi_u32 s10, s53, s6
	s_addc_u32 s7, s7, s11
	s_addc_u32 s8, s10, 0
	s_mul_i32 s6, s53, s6
	s_add_u32 s10, s7, s6
	s_addc_u32 s11, 0, s8
	s_mul_i32 s6, s50, s11
	s_mul_hi_u32 s7, s50, s10
	s_add_i32 s6, s7, s6
	s_mul_i32 s7, s51, s10
	s_add_i32 s12, s6, s7
	s_sub_i32 s8, s53, s12
	s_mul_i32 s6, s50, s10
	s_sub_u32 s13, s52, s6
	s_cselect_b64 s[6:7], -1, 0
	s_cmp_lg_u64 s[6:7], 0
	s_subb_u32 s14, s8, s51
	s_sub_u32 s15, s13, s50
	s_cselect_b64 s[8:9], -1, 0
	s_cmp_lg_u64 s[8:9], 0
	s_subb_u32 s8, s14, 0
	s_cmp_ge_u32 s8, s51
	s_cselect_b32 s9, -1, 0
	s_cmp_ge_u32 s15, s50
	s_cselect_b32 s14, -1, 0
	s_cmp_eq_u32 s8, s51
	s_cselect_b32 s8, s14, s9
	s_add_u32 s9, s10, 1
	s_addc_u32 s14, s11, 0
	s_add_u32 s15, s10, 2
	s_addc_u32 s16, s11, 0
	s_cmp_lg_u32 s8, 0
	s_cselect_b32 s8, s15, s9
	s_cselect_b32 s9, s16, s14
	s_cmp_lg_u64 s[6:7], 0
	s_subb_u32 s6, s53, s12
	s_cmp_ge_u32 s6, s51
	s_cselect_b32 s7, -1, 0
	s_cmp_ge_u32 s13, s50
	s_cselect_b32 s12, -1, 0
	s_cmp_eq_u32 s6, s51
	s_cselect_b32 s6, s12, s7
	s_cmp_lg_u32 s6, 0
	s_cselect_b32 s41, s9, s11
	s_cselect_b32 s40, s8, s10
	s_cbranch_execnz .LBB41_8
.LBB41_7:
	v_cvt_f32_u32_e32 v1, s50
	s_sub_i32 s4, 0, s50
	s_mov_b32 s41, 0
	v_rcp_iflag_f32_e32 v1, v1
	v_mul_f32_e32 v1, 0x4f7ffffe, v1
	v_cvt_u32_f32_e32 v1, v1
	v_readfirstlane_b32 s5, v1
	s_mul_i32 s4, s4, s5
	s_mul_hi_u32 s4, s5, s4
	s_add_i32 s5, s5, s4
	s_mul_hi_u32 s4, s52, s5
	s_mul_i32 s6, s4, s50
	s_sub_i32 s6, s52, s6
	s_add_i32 s5, s4, 1
	s_sub_i32 s7, s6, s50
	s_cmp_ge_u32 s6, s50
	s_cselect_b32 s4, s5, s4
	s_cselect_b32 s6, s7, s6
	s_add_i32 s5, s4, 1
	s_cmp_ge_u32 s6, s50
	s_cselect_b32 s40, s5, s4
.LBB41_8:
	s_add_i32 s70, s33, s58
	v_mov_b32_e32 v1, s40
	v_cmp_gt_u32_e64 s[6:7], s70, v0
	v_mov_b32_e32 v2, s41
	s_and_saveexec_b64 s[8:9], s[6:7]
	s_cbranch_execz .LBB41_14
; %bb.9:
	v_mov_b32_e32 v2, s53
	v_add_co_u32_e32 v3, vcc, s52, v0
	v_addc_co_u32_e32 v4, vcc, 0, v2, vcc
	v_mov_b32_e32 v1, 0
	v_or_b32_e32 v2, s51, v4
	v_cmp_ne_u64_e32 vcc, 0, v[1:2]
                                        ; implicit-def: $vgpr1_vgpr2
	s_and_saveexec_b64 s[4:5], vcc
	s_xor_b64 s[10:11], exec, s[4:5]
	s_cbranch_execz .LBB41_11
; %bb.10:
	v_cvt_f32_u32_e32 v1, s50
	v_cvt_f32_u32_e32 v2, s51
	s_sub_u32 s12, 0, s50
	s_subb_u32 s13, 0, s51
	v_madmk_f32 v1, v2, 0x4f800000, v1
	v_rcp_f32_e32 v1, v1
	v_mul_f32_e32 v1, 0x5f7ffffc, v1
	v_mul_f32_e32 v2, 0x2f800000, v1
	v_trunc_f32_e32 v2, v2
	v_madmk_f32 v1, v2, 0xcf800000, v1
	v_cvt_u32_f32_e32 v2, v2
	v_cvt_u32_f32_e32 v1, v1
	v_readfirstlane_b32 s14, v2
	v_readfirstlane_b32 s4, v1
	s_mul_i32 s5, s12, s14
	s_mul_hi_u32 s16, s12, s4
	s_mul_i32 s15, s13, s4
	s_add_i32 s5, s16, s5
	s_mul_i32 s17, s12, s4
	s_add_i32 s5, s5, s15
	s_mul_i32 s16, s4, s5
	s_mul_hi_u32 s18, s4, s17
	s_mul_hi_u32 s15, s4, s5
	s_add_u32 s16, s18, s16
	s_addc_u32 s15, 0, s15
	s_mul_hi_u32 s19, s14, s17
	s_mul_i32 s17, s14, s17
	s_add_u32 s16, s16, s17
	s_mul_hi_u32 s18, s14, s5
	s_addc_u32 s15, s15, s19
	s_addc_u32 s16, s18, 0
	s_mul_i32 s5, s14, s5
	s_add_u32 s5, s15, s5
	s_addc_u32 s15, 0, s16
	s_add_u32 s16, s4, s5
	s_cselect_b64 s[4:5], -1, 0
	s_cmp_lg_u64 s[4:5], 0
	s_addc_u32 s14, s14, s15
	s_mul_i32 s4, s12, s14
	s_mul_hi_u32 s5, s12, s16
	s_add_i32 s4, s5, s4
	s_mul_i32 s13, s13, s16
	s_add_i32 s4, s4, s13
	s_mul_i32 s12, s12, s16
	s_mul_hi_u32 s13, s14, s12
	s_mul_i32 s15, s14, s12
	s_mul_i32 s18, s16, s4
	s_mul_hi_u32 s12, s16, s12
	s_mul_hi_u32 s17, s16, s4
	s_add_u32 s12, s12, s18
	s_addc_u32 s17, 0, s17
	s_add_u32 s12, s12, s15
	s_mul_hi_u32 s5, s14, s4
	s_addc_u32 s12, s17, s13
	s_addc_u32 s5, s5, 0
	s_mul_i32 s4, s14, s4
	s_add_u32 s4, s12, s4
	s_addc_u32 s12, 0, s5
	s_add_u32 s13, s16, s4
	s_cselect_b64 s[4:5], -1, 0
	s_cmp_lg_u64 s[4:5], 0
	s_addc_u32 s12, s14, s12
	v_mad_u64_u32 v[1:2], s[4:5], v3, s12, 0
	v_mul_hi_u32 v5, v3, s13
	v_add_co_u32_e32 v7, vcc, v5, v1
	v_addc_co_u32_e32 v8, vcc, 0, v2, vcc
	v_mad_u64_u32 v[1:2], s[4:5], v4, s13, 0
	v_mad_u64_u32 v[5:6], s[4:5], v4, s12, 0
	v_add_co_u32_e32 v1, vcc, v7, v1
	v_addc_co_u32_e32 v1, vcc, v8, v2, vcc
	v_addc_co_u32_e32 v2, vcc, 0, v6, vcc
	v_add_co_u32_e32 v5, vcc, v1, v5
	v_addc_co_u32_e32 v6, vcc, 0, v2, vcc
	v_mul_lo_u32 v7, s51, v5
	v_mul_lo_u32 v8, s50, v6
	v_mad_u64_u32 v[1:2], s[4:5], s50, v5, 0
	v_add3_u32 v2, v2, v8, v7
	v_sub_u32_e32 v7, v4, v2
	v_mov_b32_e32 v8, s51
	v_sub_co_u32_e32 v1, vcc, v3, v1
	v_subb_co_u32_e64 v3, s[4:5], v7, v8, vcc
	v_subrev_co_u32_e64 v7, s[4:5], s50, v1
	v_subbrev_co_u32_e64 v3, s[4:5], 0, v3, s[4:5]
	v_cmp_le_u32_e64 s[4:5], s51, v3
	v_cndmask_b32_e64 v8, 0, -1, s[4:5]
	v_cmp_le_u32_e64 s[4:5], s50, v7
	v_cndmask_b32_e64 v7, 0, -1, s[4:5]
	v_cmp_eq_u32_e64 s[4:5], s51, v3
	v_cndmask_b32_e64 v3, v8, v7, s[4:5]
	v_add_co_u32_e64 v7, s[4:5], 2, v5
	v_subb_co_u32_e32 v2, vcc, v4, v2, vcc
	v_addc_co_u32_e64 v8, s[4:5], 0, v6, s[4:5]
	v_cmp_le_u32_e32 vcc, s51, v2
	v_add_co_u32_e64 v9, s[4:5], 1, v5
	v_cndmask_b32_e64 v4, 0, -1, vcc
	v_cmp_le_u32_e32 vcc, s50, v1
	v_addc_co_u32_e64 v10, s[4:5], 0, v6, s[4:5]
	v_cndmask_b32_e64 v1, 0, -1, vcc
	v_cmp_eq_u32_e32 vcc, s51, v2
	v_cmp_ne_u32_e64 s[4:5], 0, v3
	v_cndmask_b32_e32 v1, v4, v1, vcc
	v_cndmask_b32_e64 v3, v10, v8, s[4:5]
	v_cmp_ne_u32_e32 vcc, 0, v1
	v_cndmask_b32_e64 v1, v9, v7, s[4:5]
	v_cndmask_b32_e32 v2, v6, v3, vcc
	v_cndmask_b32_e32 v1, v5, v1, vcc
                                        ; implicit-def: $vgpr3
.LBB41_11:
	s_andn2_saveexec_b64 s[4:5], s[10:11]
	s_cbranch_execz .LBB41_13
; %bb.12:
	v_cvt_f32_u32_e32 v1, s50
	s_sub_i32 s10, 0, s50
	v_rcp_iflag_f32_e32 v1, v1
	v_mul_f32_e32 v1, 0x4f7ffffe, v1
	v_cvt_u32_f32_e32 v1, v1
	v_mul_lo_u32 v2, s10, v1
	v_mul_hi_u32 v2, v1, v2
	v_add_u32_e32 v1, v1, v2
	v_mul_hi_u32 v1, v3, v1
	v_mul_lo_u32 v2, v1, s50
	v_add_u32_e32 v4, 1, v1
	v_sub_u32_e32 v2, v3, v2
	v_subrev_u32_e32 v3, s50, v2
	v_cmp_le_u32_e32 vcc, s50, v2
	v_cndmask_b32_e32 v2, v2, v3, vcc
	v_cndmask_b32_e32 v1, v1, v4, vcc
	v_add_u32_e32 v3, 1, v1
	v_cmp_le_u32_e32 vcc, s50, v2
	v_cndmask_b32_e32 v1, v1, v3, vcc
	v_mov_b32_e32 v2, 0
.LBB41_13:
	s_or_b64 exec, exec, s[4:5]
.LBB41_14:
	s_or_b64 exec, exec, s[8:9]
	v_or_b32_e32 v5, 0x100, v0
	v_mov_b32_e32 v3, s40
	v_cmp_gt_u32_e64 s[8:9], s70, v5
	v_mov_b32_e32 v4, s41
	s_and_saveexec_b64 s[10:11], s[8:9]
	s_cbranch_execz .LBB41_20
; %bb.15:
	v_mov_b32_e32 v4, s53
	v_add_co_u32_e32 v5, vcc, s52, v5
	v_addc_co_u32_e32 v6, vcc, 0, v4, vcc
	v_mov_b32_e32 v3, 0
	v_or_b32_e32 v4, s51, v6
	v_cmp_ne_u64_e32 vcc, 0, v[3:4]
                                        ; implicit-def: $vgpr3_vgpr4
	s_and_saveexec_b64 s[4:5], vcc
	s_xor_b64 s[12:13], exec, s[4:5]
	s_cbranch_execz .LBB41_17
; %bb.16:
	v_cvt_f32_u32_e32 v3, s50
	v_cvt_f32_u32_e32 v4, s51
	s_sub_u32 s14, 0, s50
	s_subb_u32 s15, 0, s51
	v_madmk_f32 v3, v4, 0x4f800000, v3
	v_rcp_f32_e32 v3, v3
	v_mul_f32_e32 v3, 0x5f7ffffc, v3
	v_mul_f32_e32 v4, 0x2f800000, v3
	v_trunc_f32_e32 v4, v4
	v_madmk_f32 v3, v4, 0xcf800000, v3
	v_cvt_u32_f32_e32 v4, v4
	v_cvt_u32_f32_e32 v3, v3
	v_readfirstlane_b32 s16, v4
	v_readfirstlane_b32 s4, v3
	s_mul_i32 s5, s14, s16
	s_mul_hi_u32 s18, s14, s4
	s_mul_i32 s17, s15, s4
	s_add_i32 s5, s18, s5
	s_mul_i32 s19, s14, s4
	s_add_i32 s5, s5, s17
	s_mul_i32 s18, s4, s5
	s_mul_hi_u32 s20, s4, s19
	s_mul_hi_u32 s17, s4, s5
	s_add_u32 s18, s20, s18
	s_addc_u32 s17, 0, s17
	s_mul_hi_u32 s21, s16, s19
	s_mul_i32 s19, s16, s19
	s_add_u32 s18, s18, s19
	s_mul_hi_u32 s20, s16, s5
	s_addc_u32 s17, s17, s21
	s_addc_u32 s18, s20, 0
	s_mul_i32 s5, s16, s5
	s_add_u32 s5, s17, s5
	s_addc_u32 s17, 0, s18
	s_add_u32 s18, s4, s5
	s_cselect_b64 s[4:5], -1, 0
	s_cmp_lg_u64 s[4:5], 0
	s_addc_u32 s16, s16, s17
	s_mul_i32 s4, s14, s16
	s_mul_hi_u32 s5, s14, s18
	s_add_i32 s4, s5, s4
	s_mul_i32 s15, s15, s18
	s_add_i32 s4, s4, s15
	s_mul_i32 s14, s14, s18
	s_mul_hi_u32 s15, s16, s14
	s_mul_i32 s17, s16, s14
	s_mul_i32 s20, s18, s4
	s_mul_hi_u32 s14, s18, s14
	s_mul_hi_u32 s19, s18, s4
	s_add_u32 s14, s14, s20
	s_addc_u32 s19, 0, s19
	s_add_u32 s14, s14, s17
	s_mul_hi_u32 s5, s16, s4
	s_addc_u32 s14, s19, s15
	s_addc_u32 s5, s5, 0
	s_mul_i32 s4, s16, s4
	s_add_u32 s4, s14, s4
	s_addc_u32 s14, 0, s5
	s_add_u32 s15, s18, s4
	s_cselect_b64 s[4:5], -1, 0
	s_cmp_lg_u64 s[4:5], 0
	s_addc_u32 s14, s16, s14
	v_mad_u64_u32 v[3:4], s[4:5], v5, s14, 0
	v_mul_hi_u32 v7, v5, s15
	v_add_co_u32_e32 v9, vcc, v7, v3
	v_addc_co_u32_e32 v10, vcc, 0, v4, vcc
	v_mad_u64_u32 v[3:4], s[4:5], v6, s15, 0
	v_mad_u64_u32 v[7:8], s[4:5], v6, s14, 0
	v_add_co_u32_e32 v3, vcc, v9, v3
	v_addc_co_u32_e32 v3, vcc, v10, v4, vcc
	v_addc_co_u32_e32 v4, vcc, 0, v8, vcc
	v_add_co_u32_e32 v7, vcc, v3, v7
	v_addc_co_u32_e32 v8, vcc, 0, v4, vcc
	v_mul_lo_u32 v9, s51, v7
	v_mul_lo_u32 v10, s50, v8
	v_mad_u64_u32 v[3:4], s[4:5], s50, v7, 0
	v_add3_u32 v4, v4, v10, v9
	v_sub_u32_e32 v9, v6, v4
	v_mov_b32_e32 v10, s51
	v_sub_co_u32_e32 v3, vcc, v5, v3
	v_subb_co_u32_e64 v5, s[4:5], v9, v10, vcc
	v_subrev_co_u32_e64 v9, s[4:5], s50, v3
	v_subbrev_co_u32_e64 v5, s[4:5], 0, v5, s[4:5]
	v_cmp_le_u32_e64 s[4:5], s51, v5
	v_cndmask_b32_e64 v10, 0, -1, s[4:5]
	v_cmp_le_u32_e64 s[4:5], s50, v9
	v_cndmask_b32_e64 v9, 0, -1, s[4:5]
	v_cmp_eq_u32_e64 s[4:5], s51, v5
	v_cndmask_b32_e64 v5, v10, v9, s[4:5]
	v_add_co_u32_e64 v9, s[4:5], 2, v7
	v_subb_co_u32_e32 v4, vcc, v6, v4, vcc
	v_addc_co_u32_e64 v10, s[4:5], 0, v8, s[4:5]
	v_cmp_le_u32_e32 vcc, s51, v4
	v_add_co_u32_e64 v11, s[4:5], 1, v7
	v_cndmask_b32_e64 v6, 0, -1, vcc
	v_cmp_le_u32_e32 vcc, s50, v3
	v_addc_co_u32_e64 v12, s[4:5], 0, v8, s[4:5]
	v_cndmask_b32_e64 v3, 0, -1, vcc
	v_cmp_eq_u32_e32 vcc, s51, v4
	v_cmp_ne_u32_e64 s[4:5], 0, v5
	v_cndmask_b32_e32 v3, v6, v3, vcc
	v_cndmask_b32_e64 v5, v12, v10, s[4:5]
	v_cmp_ne_u32_e32 vcc, 0, v3
	v_cndmask_b32_e64 v3, v11, v9, s[4:5]
	v_cndmask_b32_e32 v4, v8, v5, vcc
	v_cndmask_b32_e32 v3, v7, v3, vcc
                                        ; implicit-def: $vgpr5
.LBB41_17:
	s_andn2_saveexec_b64 s[4:5], s[12:13]
	s_cbranch_execz .LBB41_19
; %bb.18:
	v_cvt_f32_u32_e32 v3, s50
	s_sub_i32 s12, 0, s50
	v_rcp_iflag_f32_e32 v3, v3
	v_mul_f32_e32 v3, 0x4f7ffffe, v3
	v_cvt_u32_f32_e32 v3, v3
	v_mul_lo_u32 v4, s12, v3
	v_mul_hi_u32 v4, v3, v4
	v_add_u32_e32 v3, v3, v4
	v_mul_hi_u32 v3, v5, v3
	v_mul_lo_u32 v4, v3, s50
	v_add_u32_e32 v6, 1, v3
	v_sub_u32_e32 v4, v5, v4
	v_subrev_u32_e32 v5, s50, v4
	v_cmp_le_u32_e32 vcc, s50, v4
	v_cndmask_b32_e32 v4, v4, v5, vcc
	v_cndmask_b32_e32 v3, v3, v6, vcc
	v_add_u32_e32 v5, 1, v3
	v_cmp_le_u32_e32 vcc, s50, v4
	v_cndmask_b32_e32 v3, v3, v5, vcc
	v_mov_b32_e32 v4, 0
.LBB41_19:
	s_or_b64 exec, exec, s[4:5]
.LBB41_20:
	s_or_b64 exec, exec, s[10:11]
	v_or_b32_e32 v7, 0x200, v0
	v_mov_b32_e32 v5, s40
	v_cmp_gt_u32_e64 s[10:11], s70, v7
	v_mov_b32_e32 v6, s41
	s_and_saveexec_b64 s[12:13], s[10:11]
	s_cbranch_execz .LBB41_26
; %bb.21:
	v_mov_b32_e32 v6, s53
	v_add_co_u32_e32 v7, vcc, s52, v7
	v_addc_co_u32_e32 v8, vcc, 0, v6, vcc
	v_mov_b32_e32 v5, 0
	v_or_b32_e32 v6, s51, v8
	v_cmp_ne_u64_e32 vcc, 0, v[5:6]
                                        ; implicit-def: $vgpr5_vgpr6
	s_and_saveexec_b64 s[4:5], vcc
	s_xor_b64 s[14:15], exec, s[4:5]
	s_cbranch_execz .LBB41_23
; %bb.22:
	v_cvt_f32_u32_e32 v5, s50
	v_cvt_f32_u32_e32 v6, s51
	s_sub_u32 s16, 0, s50
	s_subb_u32 s17, 0, s51
	v_madmk_f32 v5, v6, 0x4f800000, v5
	v_rcp_f32_e32 v5, v5
	v_mul_f32_e32 v5, 0x5f7ffffc, v5
	v_mul_f32_e32 v6, 0x2f800000, v5
	v_trunc_f32_e32 v6, v6
	v_madmk_f32 v5, v6, 0xcf800000, v5
	v_cvt_u32_f32_e32 v6, v6
	v_cvt_u32_f32_e32 v5, v5
	v_readfirstlane_b32 s18, v6
	v_readfirstlane_b32 s4, v5
	s_mul_i32 s5, s16, s18
	s_mul_hi_u32 s20, s16, s4
	s_mul_i32 s19, s17, s4
	s_add_i32 s5, s20, s5
	s_mul_i32 s21, s16, s4
	s_add_i32 s5, s5, s19
	s_mul_i32 s20, s4, s5
	s_mul_hi_u32 s22, s4, s21
	s_mul_hi_u32 s19, s4, s5
	s_add_u32 s20, s22, s20
	s_addc_u32 s19, 0, s19
	s_mul_hi_u32 s23, s18, s21
	s_mul_i32 s21, s18, s21
	s_add_u32 s20, s20, s21
	s_mul_hi_u32 s22, s18, s5
	s_addc_u32 s19, s19, s23
	s_addc_u32 s20, s22, 0
	s_mul_i32 s5, s18, s5
	s_add_u32 s5, s19, s5
	s_addc_u32 s19, 0, s20
	s_add_u32 s20, s4, s5
	s_cselect_b64 s[4:5], -1, 0
	s_cmp_lg_u64 s[4:5], 0
	s_addc_u32 s18, s18, s19
	s_mul_i32 s4, s16, s18
	s_mul_hi_u32 s5, s16, s20
	s_add_i32 s4, s5, s4
	s_mul_i32 s17, s17, s20
	s_add_i32 s4, s4, s17
	s_mul_i32 s16, s16, s20
	s_mul_hi_u32 s17, s18, s16
	s_mul_i32 s19, s18, s16
	s_mul_i32 s22, s20, s4
	s_mul_hi_u32 s16, s20, s16
	s_mul_hi_u32 s21, s20, s4
	s_add_u32 s16, s16, s22
	s_addc_u32 s21, 0, s21
	s_add_u32 s16, s16, s19
	s_mul_hi_u32 s5, s18, s4
	s_addc_u32 s16, s21, s17
	s_addc_u32 s5, s5, 0
	s_mul_i32 s4, s18, s4
	s_add_u32 s4, s16, s4
	s_addc_u32 s16, 0, s5
	s_add_u32 s17, s20, s4
	s_cselect_b64 s[4:5], -1, 0
	s_cmp_lg_u64 s[4:5], 0
	s_addc_u32 s16, s18, s16
	v_mad_u64_u32 v[5:6], s[4:5], v7, s16, 0
	v_mul_hi_u32 v9, v7, s17
	v_add_co_u32_e32 v11, vcc, v9, v5
	v_addc_co_u32_e32 v12, vcc, 0, v6, vcc
	v_mad_u64_u32 v[5:6], s[4:5], v8, s17, 0
	v_mad_u64_u32 v[9:10], s[4:5], v8, s16, 0
	v_add_co_u32_e32 v5, vcc, v11, v5
	v_addc_co_u32_e32 v5, vcc, v12, v6, vcc
	v_addc_co_u32_e32 v6, vcc, 0, v10, vcc
	v_add_co_u32_e32 v9, vcc, v5, v9
	v_addc_co_u32_e32 v10, vcc, 0, v6, vcc
	v_mul_lo_u32 v11, s51, v9
	v_mul_lo_u32 v12, s50, v10
	v_mad_u64_u32 v[5:6], s[4:5], s50, v9, 0
	v_add3_u32 v6, v6, v12, v11
	v_sub_u32_e32 v11, v8, v6
	v_mov_b32_e32 v12, s51
	v_sub_co_u32_e32 v5, vcc, v7, v5
	v_subb_co_u32_e64 v7, s[4:5], v11, v12, vcc
	v_subrev_co_u32_e64 v11, s[4:5], s50, v5
	v_subbrev_co_u32_e64 v7, s[4:5], 0, v7, s[4:5]
	v_cmp_le_u32_e64 s[4:5], s51, v7
	v_cndmask_b32_e64 v12, 0, -1, s[4:5]
	v_cmp_le_u32_e64 s[4:5], s50, v11
	v_cndmask_b32_e64 v11, 0, -1, s[4:5]
	v_cmp_eq_u32_e64 s[4:5], s51, v7
	v_cndmask_b32_e64 v7, v12, v11, s[4:5]
	v_add_co_u32_e64 v11, s[4:5], 2, v9
	v_subb_co_u32_e32 v6, vcc, v8, v6, vcc
	v_addc_co_u32_e64 v12, s[4:5], 0, v10, s[4:5]
	v_cmp_le_u32_e32 vcc, s51, v6
	v_add_co_u32_e64 v13, s[4:5], 1, v9
	v_cndmask_b32_e64 v8, 0, -1, vcc
	v_cmp_le_u32_e32 vcc, s50, v5
	v_addc_co_u32_e64 v14, s[4:5], 0, v10, s[4:5]
	v_cndmask_b32_e64 v5, 0, -1, vcc
	v_cmp_eq_u32_e32 vcc, s51, v6
	v_cmp_ne_u32_e64 s[4:5], 0, v7
	v_cndmask_b32_e32 v5, v8, v5, vcc
	v_cndmask_b32_e64 v7, v14, v12, s[4:5]
	v_cmp_ne_u32_e32 vcc, 0, v5
	v_cndmask_b32_e64 v5, v13, v11, s[4:5]
	v_cndmask_b32_e32 v6, v10, v7, vcc
	v_cndmask_b32_e32 v5, v9, v5, vcc
                                        ; implicit-def: $vgpr7
.LBB41_23:
	s_andn2_saveexec_b64 s[4:5], s[14:15]
	s_cbranch_execz .LBB41_25
; %bb.24:
	v_cvt_f32_u32_e32 v5, s50
	s_sub_i32 s14, 0, s50
	v_rcp_iflag_f32_e32 v5, v5
	v_mul_f32_e32 v5, 0x4f7ffffe, v5
	v_cvt_u32_f32_e32 v5, v5
	v_mul_lo_u32 v6, s14, v5
	v_mul_hi_u32 v6, v5, v6
	v_add_u32_e32 v5, v5, v6
	v_mul_hi_u32 v5, v7, v5
	v_mul_lo_u32 v6, v5, s50
	v_add_u32_e32 v8, 1, v5
	v_sub_u32_e32 v6, v7, v6
	v_subrev_u32_e32 v7, s50, v6
	v_cmp_le_u32_e32 vcc, s50, v6
	v_cndmask_b32_e32 v6, v6, v7, vcc
	v_cndmask_b32_e32 v5, v5, v8, vcc
	v_add_u32_e32 v7, 1, v5
	v_cmp_le_u32_e32 vcc, s50, v6
	v_cndmask_b32_e32 v5, v5, v7, vcc
	v_mov_b32_e32 v6, 0
.LBB41_25:
	s_or_b64 exec, exec, s[4:5]
.LBB41_26:
	s_or_b64 exec, exec, s[12:13]
	v_or_b32_e32 v9, 0x300, v0
	v_mov_b32_e32 v7, s40
	v_cmp_gt_u32_e64 s[12:13], s70, v9
	v_mov_b32_e32 v8, s41
	s_and_saveexec_b64 s[14:15], s[12:13]
	s_cbranch_execz .LBB41_32
; %bb.27:
	v_mov_b32_e32 v8, s53
	v_add_co_u32_e32 v9, vcc, s52, v9
	v_addc_co_u32_e32 v10, vcc, 0, v8, vcc
	v_mov_b32_e32 v7, 0
	v_or_b32_e32 v8, s51, v10
	v_cmp_ne_u64_e32 vcc, 0, v[7:8]
                                        ; implicit-def: $vgpr7_vgpr8
	s_and_saveexec_b64 s[4:5], vcc
	s_xor_b64 s[16:17], exec, s[4:5]
	s_cbranch_execz .LBB41_29
; %bb.28:
	v_cvt_f32_u32_e32 v7, s50
	v_cvt_f32_u32_e32 v8, s51
	s_sub_u32 s18, 0, s50
	s_subb_u32 s19, 0, s51
	v_madmk_f32 v7, v8, 0x4f800000, v7
	v_rcp_f32_e32 v7, v7
	v_mul_f32_e32 v7, 0x5f7ffffc, v7
	v_mul_f32_e32 v8, 0x2f800000, v7
	v_trunc_f32_e32 v8, v8
	v_madmk_f32 v7, v8, 0xcf800000, v7
	v_cvt_u32_f32_e32 v8, v8
	v_cvt_u32_f32_e32 v7, v7
	v_readfirstlane_b32 s20, v8
	v_readfirstlane_b32 s4, v7
	s_mul_i32 s5, s18, s20
	s_mul_hi_u32 s22, s18, s4
	s_mul_i32 s21, s19, s4
	s_add_i32 s5, s22, s5
	s_mul_i32 s23, s18, s4
	s_add_i32 s5, s5, s21
	s_mul_i32 s22, s4, s5
	s_mul_hi_u32 s24, s4, s23
	s_mul_hi_u32 s21, s4, s5
	s_add_u32 s22, s24, s22
	s_addc_u32 s21, 0, s21
	s_mul_hi_u32 s25, s20, s23
	s_mul_i32 s23, s20, s23
	s_add_u32 s22, s22, s23
	s_mul_hi_u32 s24, s20, s5
	s_addc_u32 s21, s21, s25
	s_addc_u32 s22, s24, 0
	s_mul_i32 s5, s20, s5
	s_add_u32 s5, s21, s5
	s_addc_u32 s21, 0, s22
	s_add_u32 s22, s4, s5
	s_cselect_b64 s[4:5], -1, 0
	s_cmp_lg_u64 s[4:5], 0
	s_addc_u32 s20, s20, s21
	s_mul_i32 s4, s18, s20
	s_mul_hi_u32 s5, s18, s22
	s_add_i32 s4, s5, s4
	s_mul_i32 s19, s19, s22
	s_add_i32 s4, s4, s19
	s_mul_i32 s18, s18, s22
	s_mul_hi_u32 s19, s20, s18
	s_mul_i32 s21, s20, s18
	s_mul_i32 s24, s22, s4
	s_mul_hi_u32 s18, s22, s18
	s_mul_hi_u32 s23, s22, s4
	s_add_u32 s18, s18, s24
	s_addc_u32 s23, 0, s23
	s_add_u32 s18, s18, s21
	s_mul_hi_u32 s5, s20, s4
	s_addc_u32 s18, s23, s19
	s_addc_u32 s5, s5, 0
	s_mul_i32 s4, s20, s4
	s_add_u32 s4, s18, s4
	s_addc_u32 s18, 0, s5
	s_add_u32 s19, s22, s4
	s_cselect_b64 s[4:5], -1, 0
	s_cmp_lg_u64 s[4:5], 0
	s_addc_u32 s18, s20, s18
	v_mad_u64_u32 v[7:8], s[4:5], v9, s18, 0
	v_mul_hi_u32 v11, v9, s19
	v_add_co_u32_e32 v13, vcc, v11, v7
	v_addc_co_u32_e32 v14, vcc, 0, v8, vcc
	v_mad_u64_u32 v[7:8], s[4:5], v10, s19, 0
	v_mad_u64_u32 v[11:12], s[4:5], v10, s18, 0
	v_add_co_u32_e32 v7, vcc, v13, v7
	v_addc_co_u32_e32 v7, vcc, v14, v8, vcc
	v_addc_co_u32_e32 v8, vcc, 0, v12, vcc
	v_add_co_u32_e32 v11, vcc, v7, v11
	v_addc_co_u32_e32 v12, vcc, 0, v8, vcc
	v_mul_lo_u32 v13, s51, v11
	v_mul_lo_u32 v14, s50, v12
	v_mad_u64_u32 v[7:8], s[4:5], s50, v11, 0
	v_add3_u32 v8, v8, v14, v13
	v_sub_u32_e32 v13, v10, v8
	v_mov_b32_e32 v14, s51
	v_sub_co_u32_e32 v7, vcc, v9, v7
	v_subb_co_u32_e64 v9, s[4:5], v13, v14, vcc
	v_subrev_co_u32_e64 v13, s[4:5], s50, v7
	v_subbrev_co_u32_e64 v9, s[4:5], 0, v9, s[4:5]
	v_cmp_le_u32_e64 s[4:5], s51, v9
	v_cndmask_b32_e64 v14, 0, -1, s[4:5]
	v_cmp_le_u32_e64 s[4:5], s50, v13
	v_cndmask_b32_e64 v13, 0, -1, s[4:5]
	v_cmp_eq_u32_e64 s[4:5], s51, v9
	v_cndmask_b32_e64 v9, v14, v13, s[4:5]
	v_add_co_u32_e64 v13, s[4:5], 2, v11
	v_subb_co_u32_e32 v8, vcc, v10, v8, vcc
	v_addc_co_u32_e64 v14, s[4:5], 0, v12, s[4:5]
	v_cmp_le_u32_e32 vcc, s51, v8
	v_add_co_u32_e64 v15, s[4:5], 1, v11
	v_cndmask_b32_e64 v10, 0, -1, vcc
	v_cmp_le_u32_e32 vcc, s50, v7
	v_addc_co_u32_e64 v16, s[4:5], 0, v12, s[4:5]
	v_cndmask_b32_e64 v7, 0, -1, vcc
	v_cmp_eq_u32_e32 vcc, s51, v8
	v_cmp_ne_u32_e64 s[4:5], 0, v9
	v_cndmask_b32_e32 v7, v10, v7, vcc
	v_cndmask_b32_e64 v9, v16, v14, s[4:5]
	v_cmp_ne_u32_e32 vcc, 0, v7
	v_cndmask_b32_e64 v7, v15, v13, s[4:5]
	v_cndmask_b32_e32 v8, v12, v9, vcc
	v_cndmask_b32_e32 v7, v11, v7, vcc
                                        ; implicit-def: $vgpr9
.LBB41_29:
	s_andn2_saveexec_b64 s[4:5], s[16:17]
	s_cbranch_execz .LBB41_31
; %bb.30:
	v_cvt_f32_u32_e32 v7, s50
	s_sub_i32 s16, 0, s50
	v_rcp_iflag_f32_e32 v7, v7
	v_mul_f32_e32 v7, 0x4f7ffffe, v7
	v_cvt_u32_f32_e32 v7, v7
	v_mul_lo_u32 v8, s16, v7
	v_mul_hi_u32 v8, v7, v8
	v_add_u32_e32 v7, v7, v8
	v_mul_hi_u32 v7, v9, v7
	v_mul_lo_u32 v8, v7, s50
	v_add_u32_e32 v10, 1, v7
	v_sub_u32_e32 v8, v9, v8
	v_subrev_u32_e32 v9, s50, v8
	v_cmp_le_u32_e32 vcc, s50, v8
	v_cndmask_b32_e32 v8, v8, v9, vcc
	v_cndmask_b32_e32 v7, v7, v10, vcc
	v_add_u32_e32 v9, 1, v7
	v_cmp_le_u32_e32 vcc, s50, v8
	v_cndmask_b32_e32 v7, v7, v9, vcc
	v_mov_b32_e32 v8, 0
.LBB41_31:
	s_or_b64 exec, exec, s[4:5]
.LBB41_32:
	s_or_b64 exec, exec, s[14:15]
	v_or_b32_e32 v29, 0x400, v0
	v_mov_b32_e32 v9, s40
	v_cmp_gt_u32_e64 s[14:15], s70, v29
	v_mov_b32_e32 v10, s41
	s_and_saveexec_b64 s[16:17], s[14:15]
	s_cbranch_execz .LBB41_38
; %bb.33:
	v_mov_b32_e32 v10, s53
	v_add_co_u32_e32 v11, vcc, s52, v29
	v_addc_co_u32_e32 v12, vcc, 0, v10, vcc
	v_mov_b32_e32 v9, 0
	v_or_b32_e32 v10, s51, v12
	v_cmp_ne_u64_e32 vcc, 0, v[9:10]
                                        ; implicit-def: $vgpr9_vgpr10
	s_and_saveexec_b64 s[4:5], vcc
	s_xor_b64 s[18:19], exec, s[4:5]
	s_cbranch_execz .LBB41_35
; %bb.34:
	v_cvt_f32_u32_e32 v9, s50
	v_cvt_f32_u32_e32 v10, s51
	s_sub_u32 s20, 0, s50
	s_subb_u32 s21, 0, s51
	v_madmk_f32 v9, v10, 0x4f800000, v9
	v_rcp_f32_e32 v9, v9
	v_mul_f32_e32 v9, 0x5f7ffffc, v9
	v_mul_f32_e32 v10, 0x2f800000, v9
	v_trunc_f32_e32 v10, v10
	v_madmk_f32 v9, v10, 0xcf800000, v9
	v_cvt_u32_f32_e32 v10, v10
	v_cvt_u32_f32_e32 v9, v9
	v_readfirstlane_b32 s22, v10
	v_readfirstlane_b32 s4, v9
	s_mul_i32 s5, s20, s22
	s_mul_hi_u32 s24, s20, s4
	s_mul_i32 s23, s21, s4
	s_add_i32 s5, s24, s5
	s_mul_i32 s25, s20, s4
	s_add_i32 s5, s5, s23
	s_mul_i32 s24, s4, s5
	s_mul_hi_u32 s26, s4, s25
	s_mul_hi_u32 s23, s4, s5
	s_add_u32 s24, s26, s24
	s_addc_u32 s23, 0, s23
	s_mul_hi_u32 s27, s22, s25
	s_mul_i32 s25, s22, s25
	s_add_u32 s24, s24, s25
	s_mul_hi_u32 s26, s22, s5
	s_addc_u32 s23, s23, s27
	s_addc_u32 s24, s26, 0
	s_mul_i32 s5, s22, s5
	s_add_u32 s5, s23, s5
	s_addc_u32 s23, 0, s24
	s_add_u32 s24, s4, s5
	s_cselect_b64 s[4:5], -1, 0
	s_cmp_lg_u64 s[4:5], 0
	s_addc_u32 s22, s22, s23
	s_mul_i32 s4, s20, s22
	s_mul_hi_u32 s5, s20, s24
	s_add_i32 s4, s5, s4
	s_mul_i32 s21, s21, s24
	s_add_i32 s4, s4, s21
	s_mul_i32 s20, s20, s24
	s_mul_hi_u32 s21, s22, s20
	s_mul_i32 s23, s22, s20
	s_mul_i32 s26, s24, s4
	s_mul_hi_u32 s20, s24, s20
	s_mul_hi_u32 s25, s24, s4
	s_add_u32 s20, s20, s26
	s_addc_u32 s25, 0, s25
	s_add_u32 s20, s20, s23
	s_mul_hi_u32 s5, s22, s4
	s_addc_u32 s20, s25, s21
	s_addc_u32 s5, s5, 0
	s_mul_i32 s4, s22, s4
	s_add_u32 s4, s20, s4
	s_addc_u32 s20, 0, s5
	s_add_u32 s21, s24, s4
	s_cselect_b64 s[4:5], -1, 0
	s_cmp_lg_u64 s[4:5], 0
	s_addc_u32 s20, s22, s20
	v_mad_u64_u32 v[9:10], s[4:5], v11, s20, 0
	v_mul_hi_u32 v13, v11, s21
	v_add_co_u32_e32 v15, vcc, v13, v9
	v_addc_co_u32_e32 v16, vcc, 0, v10, vcc
	v_mad_u64_u32 v[9:10], s[4:5], v12, s21, 0
	v_mad_u64_u32 v[13:14], s[4:5], v12, s20, 0
	v_add_co_u32_e32 v9, vcc, v15, v9
	v_addc_co_u32_e32 v9, vcc, v16, v10, vcc
	v_addc_co_u32_e32 v10, vcc, 0, v14, vcc
	v_add_co_u32_e32 v13, vcc, v9, v13
	v_addc_co_u32_e32 v14, vcc, 0, v10, vcc
	v_mul_lo_u32 v15, s51, v13
	v_mul_lo_u32 v16, s50, v14
	v_mad_u64_u32 v[9:10], s[4:5], s50, v13, 0
	v_add3_u32 v10, v10, v16, v15
	v_sub_u32_e32 v15, v12, v10
	v_mov_b32_e32 v16, s51
	v_sub_co_u32_e32 v9, vcc, v11, v9
	v_subb_co_u32_e64 v11, s[4:5], v15, v16, vcc
	v_subrev_co_u32_e64 v15, s[4:5], s50, v9
	v_subbrev_co_u32_e64 v11, s[4:5], 0, v11, s[4:5]
	v_cmp_le_u32_e64 s[4:5], s51, v11
	v_cndmask_b32_e64 v16, 0, -1, s[4:5]
	v_cmp_le_u32_e64 s[4:5], s50, v15
	v_cndmask_b32_e64 v15, 0, -1, s[4:5]
	v_cmp_eq_u32_e64 s[4:5], s51, v11
	v_cndmask_b32_e64 v11, v16, v15, s[4:5]
	v_add_co_u32_e64 v15, s[4:5], 2, v13
	v_subb_co_u32_e32 v10, vcc, v12, v10, vcc
	v_addc_co_u32_e64 v16, s[4:5], 0, v14, s[4:5]
	v_cmp_le_u32_e32 vcc, s51, v10
	v_add_co_u32_e64 v17, s[4:5], 1, v13
	v_cndmask_b32_e64 v12, 0, -1, vcc
	v_cmp_le_u32_e32 vcc, s50, v9
	v_addc_co_u32_e64 v18, s[4:5], 0, v14, s[4:5]
	v_cndmask_b32_e64 v9, 0, -1, vcc
	v_cmp_eq_u32_e32 vcc, s51, v10
	v_cmp_ne_u32_e64 s[4:5], 0, v11
	v_cndmask_b32_e32 v9, v12, v9, vcc
	v_cndmask_b32_e64 v11, v18, v16, s[4:5]
	v_cmp_ne_u32_e32 vcc, 0, v9
	v_cndmask_b32_e64 v9, v17, v15, s[4:5]
	v_cndmask_b32_e32 v10, v14, v11, vcc
	v_cndmask_b32_e32 v9, v13, v9, vcc
                                        ; implicit-def: $vgpr11
.LBB41_35:
	s_andn2_saveexec_b64 s[4:5], s[18:19]
	s_cbranch_execz .LBB41_37
; %bb.36:
	v_cvt_f32_u32_e32 v9, s50
	s_sub_i32 s18, 0, s50
	v_rcp_iflag_f32_e32 v9, v9
	v_mul_f32_e32 v9, 0x4f7ffffe, v9
	v_cvt_u32_f32_e32 v9, v9
	v_mul_lo_u32 v10, s18, v9
	v_mul_hi_u32 v10, v9, v10
	v_add_u32_e32 v9, v9, v10
	v_mul_hi_u32 v9, v11, v9
	v_mul_lo_u32 v10, v9, s50
	v_add_u32_e32 v12, 1, v9
	v_sub_u32_e32 v10, v11, v10
	v_subrev_u32_e32 v11, s50, v10
	v_cmp_le_u32_e32 vcc, s50, v10
	v_cndmask_b32_e32 v10, v10, v11, vcc
	v_cndmask_b32_e32 v9, v9, v12, vcc
	v_add_u32_e32 v11, 1, v9
	v_cmp_le_u32_e32 vcc, s50, v10
	v_cndmask_b32_e32 v9, v9, v11, vcc
	v_mov_b32_e32 v10, 0
.LBB41_37:
	s_or_b64 exec, exec, s[4:5]
.LBB41_38:
	s_or_b64 exec, exec, s[16:17]
	v_or_b32_e32 v30, 0x500, v0
	v_mov_b32_e32 v11, s40
	v_cmp_gt_u32_e64 s[16:17], s70, v30
	v_mov_b32_e32 v12, s41
	s_and_saveexec_b64 s[18:19], s[16:17]
	s_cbranch_execz .LBB41_44
; %bb.39:
	v_mov_b32_e32 v12, s53
	v_add_co_u32_e32 v13, vcc, s52, v30
	v_addc_co_u32_e32 v14, vcc, 0, v12, vcc
	v_mov_b32_e32 v11, 0
	v_or_b32_e32 v12, s51, v14
	v_cmp_ne_u64_e32 vcc, 0, v[11:12]
                                        ; implicit-def: $vgpr11_vgpr12
	s_and_saveexec_b64 s[4:5], vcc
	s_xor_b64 s[20:21], exec, s[4:5]
	s_cbranch_execz .LBB41_41
; %bb.40:
	v_cvt_f32_u32_e32 v11, s50
	v_cvt_f32_u32_e32 v12, s51
	s_sub_u32 s22, 0, s50
	s_subb_u32 s23, 0, s51
	v_madmk_f32 v11, v12, 0x4f800000, v11
	v_rcp_f32_e32 v11, v11
	v_mul_f32_e32 v11, 0x5f7ffffc, v11
	v_mul_f32_e32 v12, 0x2f800000, v11
	v_trunc_f32_e32 v12, v12
	v_madmk_f32 v11, v12, 0xcf800000, v11
	v_cvt_u32_f32_e32 v12, v12
	v_cvt_u32_f32_e32 v11, v11
	v_readfirstlane_b32 s24, v12
	v_readfirstlane_b32 s4, v11
	s_mul_i32 s5, s22, s24
	s_mul_hi_u32 s26, s22, s4
	s_mul_i32 s25, s23, s4
	s_add_i32 s5, s26, s5
	s_mul_i32 s27, s22, s4
	s_add_i32 s5, s5, s25
	s_mul_i32 s26, s4, s5
	s_mul_hi_u32 s28, s4, s27
	s_mul_hi_u32 s25, s4, s5
	s_add_u32 s26, s28, s26
	s_addc_u32 s25, 0, s25
	s_mul_hi_u32 s29, s24, s27
	s_mul_i32 s27, s24, s27
	s_add_u32 s26, s26, s27
	s_mul_hi_u32 s28, s24, s5
	s_addc_u32 s25, s25, s29
	s_addc_u32 s26, s28, 0
	s_mul_i32 s5, s24, s5
	s_add_u32 s5, s25, s5
	s_addc_u32 s25, 0, s26
	s_add_u32 s26, s4, s5
	s_cselect_b64 s[4:5], -1, 0
	s_cmp_lg_u64 s[4:5], 0
	s_addc_u32 s24, s24, s25
	s_mul_i32 s4, s22, s24
	s_mul_hi_u32 s5, s22, s26
	s_add_i32 s4, s5, s4
	s_mul_i32 s23, s23, s26
	s_add_i32 s4, s4, s23
	s_mul_i32 s22, s22, s26
	s_mul_hi_u32 s23, s24, s22
	s_mul_i32 s25, s24, s22
	s_mul_i32 s28, s26, s4
	s_mul_hi_u32 s22, s26, s22
	s_mul_hi_u32 s27, s26, s4
	s_add_u32 s22, s22, s28
	s_addc_u32 s27, 0, s27
	s_add_u32 s22, s22, s25
	s_mul_hi_u32 s5, s24, s4
	s_addc_u32 s22, s27, s23
	s_addc_u32 s5, s5, 0
	s_mul_i32 s4, s24, s4
	s_add_u32 s4, s22, s4
	s_addc_u32 s22, 0, s5
	s_add_u32 s23, s26, s4
	s_cselect_b64 s[4:5], -1, 0
	s_cmp_lg_u64 s[4:5], 0
	s_addc_u32 s22, s24, s22
	v_mad_u64_u32 v[11:12], s[4:5], v13, s22, 0
	v_mul_hi_u32 v15, v13, s23
	v_add_co_u32_e32 v17, vcc, v15, v11
	v_addc_co_u32_e32 v18, vcc, 0, v12, vcc
	v_mad_u64_u32 v[11:12], s[4:5], v14, s23, 0
	v_mad_u64_u32 v[15:16], s[4:5], v14, s22, 0
	v_add_co_u32_e32 v11, vcc, v17, v11
	v_addc_co_u32_e32 v11, vcc, v18, v12, vcc
	v_addc_co_u32_e32 v12, vcc, 0, v16, vcc
	v_add_co_u32_e32 v15, vcc, v11, v15
	v_addc_co_u32_e32 v16, vcc, 0, v12, vcc
	v_mul_lo_u32 v17, s51, v15
	v_mul_lo_u32 v18, s50, v16
	v_mad_u64_u32 v[11:12], s[4:5], s50, v15, 0
	v_add3_u32 v12, v12, v18, v17
	v_sub_u32_e32 v17, v14, v12
	v_mov_b32_e32 v18, s51
	v_sub_co_u32_e32 v11, vcc, v13, v11
	v_subb_co_u32_e64 v13, s[4:5], v17, v18, vcc
	v_subrev_co_u32_e64 v17, s[4:5], s50, v11
	v_subbrev_co_u32_e64 v13, s[4:5], 0, v13, s[4:5]
	v_cmp_le_u32_e64 s[4:5], s51, v13
	v_cndmask_b32_e64 v18, 0, -1, s[4:5]
	v_cmp_le_u32_e64 s[4:5], s50, v17
	v_cndmask_b32_e64 v17, 0, -1, s[4:5]
	v_cmp_eq_u32_e64 s[4:5], s51, v13
	v_cndmask_b32_e64 v13, v18, v17, s[4:5]
	v_add_co_u32_e64 v17, s[4:5], 2, v15
	v_subb_co_u32_e32 v12, vcc, v14, v12, vcc
	v_addc_co_u32_e64 v18, s[4:5], 0, v16, s[4:5]
	v_cmp_le_u32_e32 vcc, s51, v12
	v_add_co_u32_e64 v19, s[4:5], 1, v15
	v_cndmask_b32_e64 v14, 0, -1, vcc
	v_cmp_le_u32_e32 vcc, s50, v11
	v_addc_co_u32_e64 v20, s[4:5], 0, v16, s[4:5]
	v_cndmask_b32_e64 v11, 0, -1, vcc
	v_cmp_eq_u32_e32 vcc, s51, v12
	v_cmp_ne_u32_e64 s[4:5], 0, v13
	v_cndmask_b32_e32 v11, v14, v11, vcc
	v_cndmask_b32_e64 v13, v20, v18, s[4:5]
	v_cmp_ne_u32_e32 vcc, 0, v11
	v_cndmask_b32_e64 v11, v19, v17, s[4:5]
	v_cndmask_b32_e32 v12, v16, v13, vcc
	v_cndmask_b32_e32 v11, v15, v11, vcc
                                        ; implicit-def: $vgpr13
.LBB41_41:
	s_andn2_saveexec_b64 s[4:5], s[20:21]
	s_cbranch_execz .LBB41_43
; %bb.42:
	v_cvt_f32_u32_e32 v11, s50
	s_sub_i32 s20, 0, s50
	v_rcp_iflag_f32_e32 v11, v11
	v_mul_f32_e32 v11, 0x4f7ffffe, v11
	v_cvt_u32_f32_e32 v11, v11
	v_mul_lo_u32 v12, s20, v11
	v_mul_hi_u32 v12, v11, v12
	v_add_u32_e32 v11, v11, v12
	v_mul_hi_u32 v11, v13, v11
	v_mul_lo_u32 v12, v11, s50
	v_add_u32_e32 v14, 1, v11
	v_sub_u32_e32 v12, v13, v12
	v_subrev_u32_e32 v13, s50, v12
	v_cmp_le_u32_e32 vcc, s50, v12
	v_cndmask_b32_e32 v12, v12, v13, vcc
	v_cndmask_b32_e32 v11, v11, v14, vcc
	v_add_u32_e32 v13, 1, v11
	v_cmp_le_u32_e32 vcc, s50, v12
	v_cndmask_b32_e32 v11, v11, v13, vcc
	v_mov_b32_e32 v12, 0
.LBB41_43:
	s_or_b64 exec, exec, s[4:5]
.LBB41_44:
	s_or_b64 exec, exec, s[18:19]
	v_or_b32_e32 v31, 0x600, v0
	v_mov_b32_e32 v13, s40
	v_cmp_gt_u32_e64 s[18:19], s70, v31
	v_mov_b32_e32 v14, s41
	s_and_saveexec_b64 s[20:21], s[18:19]
	s_cbranch_execz .LBB41_50
; %bb.45:
	v_mov_b32_e32 v14, s53
	v_add_co_u32_e32 v15, vcc, s52, v31
	v_addc_co_u32_e32 v16, vcc, 0, v14, vcc
	v_mov_b32_e32 v13, 0
	v_or_b32_e32 v14, s51, v16
	v_cmp_ne_u64_e32 vcc, 0, v[13:14]
                                        ; implicit-def: $vgpr13_vgpr14
	s_and_saveexec_b64 s[4:5], vcc
	s_xor_b64 s[22:23], exec, s[4:5]
	s_cbranch_execz .LBB41_47
; %bb.46:
	v_cvt_f32_u32_e32 v13, s50
	v_cvt_f32_u32_e32 v14, s51
	s_sub_u32 s24, 0, s50
	s_subb_u32 s25, 0, s51
	v_madmk_f32 v13, v14, 0x4f800000, v13
	v_rcp_f32_e32 v13, v13
	v_mul_f32_e32 v13, 0x5f7ffffc, v13
	v_mul_f32_e32 v14, 0x2f800000, v13
	v_trunc_f32_e32 v14, v14
	v_madmk_f32 v13, v14, 0xcf800000, v13
	v_cvt_u32_f32_e32 v14, v14
	v_cvt_u32_f32_e32 v13, v13
	v_readfirstlane_b32 s26, v14
	v_readfirstlane_b32 s4, v13
	s_mul_i32 s5, s24, s26
	s_mul_hi_u32 s28, s24, s4
	s_mul_i32 s27, s25, s4
	s_add_i32 s5, s28, s5
	s_mul_i32 s29, s24, s4
	s_add_i32 s5, s5, s27
	s_mul_i32 s28, s4, s5
	s_mul_hi_u32 s30, s4, s29
	s_mul_hi_u32 s27, s4, s5
	s_add_u32 s28, s30, s28
	s_addc_u32 s27, 0, s27
	s_mul_hi_u32 s31, s26, s29
	s_mul_i32 s29, s26, s29
	s_add_u32 s28, s28, s29
	s_mul_hi_u32 s30, s26, s5
	s_addc_u32 s27, s27, s31
	s_addc_u32 s28, s30, 0
	s_mul_i32 s5, s26, s5
	s_add_u32 s5, s27, s5
	s_addc_u32 s27, 0, s28
	s_add_u32 s28, s4, s5
	s_cselect_b64 s[4:5], -1, 0
	s_cmp_lg_u64 s[4:5], 0
	s_addc_u32 s26, s26, s27
	s_mul_i32 s4, s24, s26
	s_mul_hi_u32 s5, s24, s28
	s_add_i32 s4, s5, s4
	s_mul_i32 s25, s25, s28
	s_add_i32 s4, s4, s25
	s_mul_i32 s24, s24, s28
	s_mul_hi_u32 s25, s26, s24
	s_mul_i32 s27, s26, s24
	s_mul_i32 s30, s28, s4
	s_mul_hi_u32 s24, s28, s24
	s_mul_hi_u32 s29, s28, s4
	s_add_u32 s24, s24, s30
	s_addc_u32 s29, 0, s29
	s_add_u32 s24, s24, s27
	s_mul_hi_u32 s5, s26, s4
	s_addc_u32 s24, s29, s25
	s_addc_u32 s5, s5, 0
	s_mul_i32 s4, s26, s4
	s_add_u32 s4, s24, s4
	s_addc_u32 s24, 0, s5
	s_add_u32 s25, s28, s4
	s_cselect_b64 s[4:5], -1, 0
	s_cmp_lg_u64 s[4:5], 0
	s_addc_u32 s24, s26, s24
	v_mad_u64_u32 v[13:14], s[4:5], v15, s24, 0
	v_mul_hi_u32 v17, v15, s25
	v_add_co_u32_e32 v19, vcc, v17, v13
	v_addc_co_u32_e32 v20, vcc, 0, v14, vcc
	v_mad_u64_u32 v[13:14], s[4:5], v16, s25, 0
	v_mad_u64_u32 v[17:18], s[4:5], v16, s24, 0
	v_add_co_u32_e32 v13, vcc, v19, v13
	v_addc_co_u32_e32 v13, vcc, v20, v14, vcc
	v_addc_co_u32_e32 v14, vcc, 0, v18, vcc
	v_add_co_u32_e32 v17, vcc, v13, v17
	v_addc_co_u32_e32 v18, vcc, 0, v14, vcc
	v_mul_lo_u32 v19, s51, v17
	v_mul_lo_u32 v20, s50, v18
	v_mad_u64_u32 v[13:14], s[4:5], s50, v17, 0
	v_add3_u32 v14, v14, v20, v19
	v_sub_u32_e32 v19, v16, v14
	v_mov_b32_e32 v20, s51
	v_sub_co_u32_e32 v13, vcc, v15, v13
	v_subb_co_u32_e64 v15, s[4:5], v19, v20, vcc
	v_subrev_co_u32_e64 v19, s[4:5], s50, v13
	v_subbrev_co_u32_e64 v15, s[4:5], 0, v15, s[4:5]
	v_cmp_le_u32_e64 s[4:5], s51, v15
	v_cndmask_b32_e64 v20, 0, -1, s[4:5]
	v_cmp_le_u32_e64 s[4:5], s50, v19
	v_cndmask_b32_e64 v19, 0, -1, s[4:5]
	v_cmp_eq_u32_e64 s[4:5], s51, v15
	v_cndmask_b32_e64 v15, v20, v19, s[4:5]
	v_add_co_u32_e64 v19, s[4:5], 2, v17
	v_subb_co_u32_e32 v14, vcc, v16, v14, vcc
	v_addc_co_u32_e64 v20, s[4:5], 0, v18, s[4:5]
	v_cmp_le_u32_e32 vcc, s51, v14
	v_add_co_u32_e64 v21, s[4:5], 1, v17
	v_cndmask_b32_e64 v16, 0, -1, vcc
	v_cmp_le_u32_e32 vcc, s50, v13
	v_addc_co_u32_e64 v22, s[4:5], 0, v18, s[4:5]
	v_cndmask_b32_e64 v13, 0, -1, vcc
	v_cmp_eq_u32_e32 vcc, s51, v14
	v_cmp_ne_u32_e64 s[4:5], 0, v15
	v_cndmask_b32_e32 v13, v16, v13, vcc
	v_cndmask_b32_e64 v15, v22, v20, s[4:5]
	v_cmp_ne_u32_e32 vcc, 0, v13
	v_cndmask_b32_e64 v13, v21, v19, s[4:5]
	v_cndmask_b32_e32 v14, v18, v15, vcc
	v_cndmask_b32_e32 v13, v17, v13, vcc
                                        ; implicit-def: $vgpr15
.LBB41_47:
	s_andn2_saveexec_b64 s[4:5], s[22:23]
	s_cbranch_execz .LBB41_49
; %bb.48:
	v_cvt_f32_u32_e32 v13, s50
	s_sub_i32 s22, 0, s50
	v_rcp_iflag_f32_e32 v13, v13
	v_mul_f32_e32 v13, 0x4f7ffffe, v13
	v_cvt_u32_f32_e32 v13, v13
	v_mul_lo_u32 v14, s22, v13
	v_mul_hi_u32 v14, v13, v14
	v_add_u32_e32 v13, v13, v14
	v_mul_hi_u32 v13, v15, v13
	v_mul_lo_u32 v14, v13, s50
	v_add_u32_e32 v16, 1, v13
	v_sub_u32_e32 v14, v15, v14
	v_subrev_u32_e32 v15, s50, v14
	v_cmp_le_u32_e32 vcc, s50, v14
	v_cndmask_b32_e32 v14, v14, v15, vcc
	v_cndmask_b32_e32 v13, v13, v16, vcc
	v_add_u32_e32 v15, 1, v13
	v_cmp_le_u32_e32 vcc, s50, v14
	v_cndmask_b32_e32 v13, v13, v15, vcc
	v_mov_b32_e32 v14, 0
.LBB41_49:
	s_or_b64 exec, exec, s[4:5]
.LBB41_50:
	s_or_b64 exec, exec, s[20:21]
	v_or_b32_e32 v32, 0x700, v0
	v_mov_b32_e32 v15, s40
	v_cmp_gt_u32_e64 s[20:21], s70, v32
	v_mov_b32_e32 v16, s41
	s_and_saveexec_b64 s[22:23], s[20:21]
	s_cbranch_execz .LBB41_56
; %bb.51:
	v_mov_b32_e32 v16, s53
	v_add_co_u32_e32 v17, vcc, s52, v32
	v_addc_co_u32_e32 v18, vcc, 0, v16, vcc
	v_mov_b32_e32 v15, 0
	v_or_b32_e32 v16, s51, v18
	v_cmp_ne_u64_e32 vcc, 0, v[15:16]
                                        ; implicit-def: $vgpr15_vgpr16
	s_and_saveexec_b64 s[4:5], vcc
	s_xor_b64 s[24:25], exec, s[4:5]
	s_cbranch_execz .LBB41_53
; %bb.52:
	v_cvt_f32_u32_e32 v15, s50
	v_cvt_f32_u32_e32 v16, s51
	s_sub_u32 s26, 0, s50
	s_subb_u32 s27, 0, s51
	v_madmk_f32 v15, v16, 0x4f800000, v15
	v_rcp_f32_e32 v15, v15
	v_mul_f32_e32 v15, 0x5f7ffffc, v15
	v_mul_f32_e32 v16, 0x2f800000, v15
	v_trunc_f32_e32 v16, v16
	v_madmk_f32 v15, v16, 0xcf800000, v15
	v_cvt_u32_f32_e32 v16, v16
	v_cvt_u32_f32_e32 v15, v15
	v_readfirstlane_b32 s28, v16
	v_readfirstlane_b32 s4, v15
	s_mul_i32 s5, s26, s28
	s_mul_hi_u32 s30, s26, s4
	s_mul_i32 s29, s27, s4
	s_add_i32 s5, s30, s5
	s_mul_i32 s31, s26, s4
	s_add_i32 s5, s5, s29
	s_mul_i32 s30, s4, s5
	s_mul_hi_u32 s34, s4, s31
	s_mul_hi_u32 s29, s4, s5
	s_add_u32 s30, s34, s30
	s_addc_u32 s29, 0, s29
	s_mul_hi_u32 s35, s28, s31
	s_mul_i32 s31, s28, s31
	s_add_u32 s30, s30, s31
	s_mul_hi_u32 s34, s28, s5
	s_addc_u32 s29, s29, s35
	s_addc_u32 s30, s34, 0
	s_mul_i32 s5, s28, s5
	s_add_u32 s5, s29, s5
	s_addc_u32 s29, 0, s30
	s_add_u32 s30, s4, s5
	s_cselect_b64 s[4:5], -1, 0
	s_cmp_lg_u64 s[4:5], 0
	s_addc_u32 s28, s28, s29
	s_mul_i32 s4, s26, s28
	s_mul_hi_u32 s5, s26, s30
	s_add_i32 s4, s5, s4
	s_mul_i32 s27, s27, s30
	s_add_i32 s4, s4, s27
	s_mul_i32 s26, s26, s30
	s_mul_hi_u32 s27, s28, s26
	s_mul_i32 s29, s28, s26
	s_mul_i32 s34, s30, s4
	s_mul_hi_u32 s26, s30, s26
	s_mul_hi_u32 s31, s30, s4
	s_add_u32 s26, s26, s34
	s_addc_u32 s31, 0, s31
	s_add_u32 s26, s26, s29
	s_mul_hi_u32 s5, s28, s4
	s_addc_u32 s26, s31, s27
	s_addc_u32 s5, s5, 0
	s_mul_i32 s4, s28, s4
	s_add_u32 s4, s26, s4
	s_addc_u32 s26, 0, s5
	s_add_u32 s27, s30, s4
	s_cselect_b64 s[4:5], -1, 0
	s_cmp_lg_u64 s[4:5], 0
	s_addc_u32 s26, s28, s26
	v_mad_u64_u32 v[15:16], s[4:5], v17, s26, 0
	v_mul_hi_u32 v19, v17, s27
	v_add_co_u32_e32 v21, vcc, v19, v15
	v_addc_co_u32_e32 v22, vcc, 0, v16, vcc
	v_mad_u64_u32 v[15:16], s[4:5], v18, s27, 0
	v_mad_u64_u32 v[19:20], s[4:5], v18, s26, 0
	v_add_co_u32_e32 v15, vcc, v21, v15
	v_addc_co_u32_e32 v15, vcc, v22, v16, vcc
	v_addc_co_u32_e32 v16, vcc, 0, v20, vcc
	v_add_co_u32_e32 v19, vcc, v15, v19
	v_addc_co_u32_e32 v20, vcc, 0, v16, vcc
	v_mul_lo_u32 v21, s51, v19
	v_mul_lo_u32 v22, s50, v20
	v_mad_u64_u32 v[15:16], s[4:5], s50, v19, 0
	v_add3_u32 v16, v16, v22, v21
	v_sub_u32_e32 v21, v18, v16
	v_mov_b32_e32 v22, s51
	v_sub_co_u32_e32 v15, vcc, v17, v15
	v_subb_co_u32_e64 v17, s[4:5], v21, v22, vcc
	v_subrev_co_u32_e64 v21, s[4:5], s50, v15
	v_subbrev_co_u32_e64 v17, s[4:5], 0, v17, s[4:5]
	v_cmp_le_u32_e64 s[4:5], s51, v17
	v_cndmask_b32_e64 v22, 0, -1, s[4:5]
	v_cmp_le_u32_e64 s[4:5], s50, v21
	v_cndmask_b32_e64 v21, 0, -1, s[4:5]
	v_cmp_eq_u32_e64 s[4:5], s51, v17
	v_cndmask_b32_e64 v17, v22, v21, s[4:5]
	v_add_co_u32_e64 v21, s[4:5], 2, v19
	v_subb_co_u32_e32 v16, vcc, v18, v16, vcc
	v_addc_co_u32_e64 v22, s[4:5], 0, v20, s[4:5]
	v_cmp_le_u32_e32 vcc, s51, v16
	v_add_co_u32_e64 v23, s[4:5], 1, v19
	v_cndmask_b32_e64 v18, 0, -1, vcc
	v_cmp_le_u32_e32 vcc, s50, v15
	v_addc_co_u32_e64 v24, s[4:5], 0, v20, s[4:5]
	v_cndmask_b32_e64 v15, 0, -1, vcc
	v_cmp_eq_u32_e32 vcc, s51, v16
	v_cmp_ne_u32_e64 s[4:5], 0, v17
	v_cndmask_b32_e32 v15, v18, v15, vcc
	v_cndmask_b32_e64 v17, v24, v22, s[4:5]
	v_cmp_ne_u32_e32 vcc, 0, v15
	v_cndmask_b32_e64 v15, v23, v21, s[4:5]
	v_cndmask_b32_e32 v16, v20, v17, vcc
	v_cndmask_b32_e32 v15, v19, v15, vcc
                                        ; implicit-def: $vgpr17
.LBB41_53:
	s_andn2_saveexec_b64 s[4:5], s[24:25]
	s_cbranch_execz .LBB41_55
; %bb.54:
	v_cvt_f32_u32_e32 v15, s50
	s_sub_i32 s24, 0, s50
	v_rcp_iflag_f32_e32 v15, v15
	v_mul_f32_e32 v15, 0x4f7ffffe, v15
	v_cvt_u32_f32_e32 v15, v15
	v_mul_lo_u32 v16, s24, v15
	v_mul_hi_u32 v16, v15, v16
	v_add_u32_e32 v15, v15, v16
	v_mul_hi_u32 v15, v17, v15
	v_mul_lo_u32 v16, v15, s50
	v_add_u32_e32 v18, 1, v15
	v_sub_u32_e32 v16, v17, v16
	v_subrev_u32_e32 v17, s50, v16
	v_cmp_le_u32_e32 vcc, s50, v16
	v_cndmask_b32_e32 v16, v16, v17, vcc
	v_cndmask_b32_e32 v15, v15, v18, vcc
	v_add_u32_e32 v17, 1, v15
	v_cmp_le_u32_e32 vcc, s50, v16
	v_cndmask_b32_e32 v15, v15, v17, vcc
	v_mov_b32_e32 v16, 0
.LBB41_55:
	s_or_b64 exec, exec, s[4:5]
.LBB41_56:
	s_or_b64 exec, exec, s[22:23]
	v_or_b32_e32 v33, 0x800, v0
	v_mov_b32_e32 v17, s40
	v_cmp_gt_u32_e64 s[22:23], s70, v33
	v_mov_b32_e32 v18, s41
	s_and_saveexec_b64 s[24:25], s[22:23]
	s_cbranch_execz .LBB41_62
; %bb.57:
	v_mov_b32_e32 v18, s53
	v_add_co_u32_e32 v19, vcc, s52, v33
	v_addc_co_u32_e32 v20, vcc, 0, v18, vcc
	v_mov_b32_e32 v17, 0
	v_or_b32_e32 v18, s51, v20
	v_cmp_ne_u64_e32 vcc, 0, v[17:18]
                                        ; implicit-def: $vgpr17_vgpr18
	s_and_saveexec_b64 s[4:5], vcc
	s_xor_b64 s[26:27], exec, s[4:5]
	s_cbranch_execz .LBB41_59
; %bb.58:
	v_cvt_f32_u32_e32 v17, s50
	v_cvt_f32_u32_e32 v18, s51
	s_sub_u32 s28, 0, s50
	s_subb_u32 s29, 0, s51
	v_madmk_f32 v17, v18, 0x4f800000, v17
	v_rcp_f32_e32 v17, v17
	v_mul_f32_e32 v17, 0x5f7ffffc, v17
	v_mul_f32_e32 v18, 0x2f800000, v17
	v_trunc_f32_e32 v18, v18
	v_madmk_f32 v17, v18, 0xcf800000, v17
	v_cvt_u32_f32_e32 v18, v18
	v_cvt_u32_f32_e32 v17, v17
	v_readfirstlane_b32 s30, v18
	v_readfirstlane_b32 s4, v17
	s_mul_i32 s5, s28, s30
	s_mul_hi_u32 s34, s28, s4
	s_mul_i32 s31, s29, s4
	s_add_i32 s5, s34, s5
	s_mul_i32 s35, s28, s4
	s_add_i32 s5, s5, s31
	s_mul_i32 s34, s4, s5
	s_mul_hi_u32 s64, s4, s35
	s_mul_hi_u32 s31, s4, s5
	s_add_u32 s34, s64, s34
	s_addc_u32 s31, 0, s31
	s_mul_hi_u32 s65, s30, s35
	s_mul_i32 s35, s30, s35
	s_add_u32 s34, s34, s35
	s_mul_hi_u32 s64, s30, s5
	s_addc_u32 s31, s31, s65
	s_addc_u32 s34, s64, 0
	s_mul_i32 s5, s30, s5
	s_add_u32 s5, s31, s5
	s_addc_u32 s31, 0, s34
	s_add_u32 s34, s4, s5
	s_cselect_b64 s[4:5], -1, 0
	s_cmp_lg_u64 s[4:5], 0
	s_addc_u32 s30, s30, s31
	s_mul_i32 s4, s28, s30
	s_mul_hi_u32 s5, s28, s34
	s_add_i32 s4, s5, s4
	s_mul_i32 s29, s29, s34
	s_add_i32 s4, s4, s29
	s_mul_i32 s28, s28, s34
	s_mul_hi_u32 s29, s30, s28
	s_mul_i32 s31, s30, s28
	s_mul_i32 s64, s34, s4
	s_mul_hi_u32 s28, s34, s28
	s_mul_hi_u32 s35, s34, s4
	s_add_u32 s28, s28, s64
	s_addc_u32 s35, 0, s35
	s_add_u32 s28, s28, s31
	s_mul_hi_u32 s5, s30, s4
	s_addc_u32 s28, s35, s29
	s_addc_u32 s5, s5, 0
	s_mul_i32 s4, s30, s4
	s_add_u32 s4, s28, s4
	s_addc_u32 s28, 0, s5
	s_add_u32 s29, s34, s4
	s_cselect_b64 s[4:5], -1, 0
	s_cmp_lg_u64 s[4:5], 0
	s_addc_u32 s28, s30, s28
	v_mad_u64_u32 v[17:18], s[4:5], v19, s28, 0
	v_mul_hi_u32 v21, v19, s29
	v_add_co_u32_e32 v23, vcc, v21, v17
	v_addc_co_u32_e32 v24, vcc, 0, v18, vcc
	v_mad_u64_u32 v[17:18], s[4:5], v20, s29, 0
	v_mad_u64_u32 v[21:22], s[4:5], v20, s28, 0
	v_add_co_u32_e32 v17, vcc, v23, v17
	v_addc_co_u32_e32 v17, vcc, v24, v18, vcc
	v_addc_co_u32_e32 v18, vcc, 0, v22, vcc
	v_add_co_u32_e32 v21, vcc, v17, v21
	v_addc_co_u32_e32 v22, vcc, 0, v18, vcc
	v_mul_lo_u32 v23, s51, v21
	v_mul_lo_u32 v24, s50, v22
	v_mad_u64_u32 v[17:18], s[4:5], s50, v21, 0
	v_add3_u32 v18, v18, v24, v23
	v_sub_u32_e32 v23, v20, v18
	v_mov_b32_e32 v24, s51
	v_sub_co_u32_e32 v17, vcc, v19, v17
	v_subb_co_u32_e64 v19, s[4:5], v23, v24, vcc
	v_subrev_co_u32_e64 v23, s[4:5], s50, v17
	v_subbrev_co_u32_e64 v19, s[4:5], 0, v19, s[4:5]
	v_cmp_le_u32_e64 s[4:5], s51, v19
	v_cndmask_b32_e64 v24, 0, -1, s[4:5]
	v_cmp_le_u32_e64 s[4:5], s50, v23
	v_cndmask_b32_e64 v23, 0, -1, s[4:5]
	v_cmp_eq_u32_e64 s[4:5], s51, v19
	v_cndmask_b32_e64 v19, v24, v23, s[4:5]
	v_add_co_u32_e64 v23, s[4:5], 2, v21
	v_subb_co_u32_e32 v18, vcc, v20, v18, vcc
	v_addc_co_u32_e64 v24, s[4:5], 0, v22, s[4:5]
	v_cmp_le_u32_e32 vcc, s51, v18
	v_add_co_u32_e64 v25, s[4:5], 1, v21
	v_cndmask_b32_e64 v20, 0, -1, vcc
	v_cmp_le_u32_e32 vcc, s50, v17
	v_addc_co_u32_e64 v26, s[4:5], 0, v22, s[4:5]
	v_cndmask_b32_e64 v17, 0, -1, vcc
	v_cmp_eq_u32_e32 vcc, s51, v18
	v_cmp_ne_u32_e64 s[4:5], 0, v19
	v_cndmask_b32_e32 v17, v20, v17, vcc
	v_cndmask_b32_e64 v19, v26, v24, s[4:5]
	v_cmp_ne_u32_e32 vcc, 0, v17
	v_cndmask_b32_e64 v17, v25, v23, s[4:5]
	v_cndmask_b32_e32 v18, v22, v19, vcc
	v_cndmask_b32_e32 v17, v21, v17, vcc
                                        ; implicit-def: $vgpr19
.LBB41_59:
	s_andn2_saveexec_b64 s[4:5], s[26:27]
	s_cbranch_execz .LBB41_61
; %bb.60:
	v_cvt_f32_u32_e32 v17, s50
	s_sub_i32 s26, 0, s50
	v_rcp_iflag_f32_e32 v17, v17
	v_mul_f32_e32 v17, 0x4f7ffffe, v17
	v_cvt_u32_f32_e32 v17, v17
	v_mul_lo_u32 v18, s26, v17
	v_mul_hi_u32 v18, v17, v18
	v_add_u32_e32 v17, v17, v18
	v_mul_hi_u32 v17, v19, v17
	v_mul_lo_u32 v18, v17, s50
	v_add_u32_e32 v20, 1, v17
	v_sub_u32_e32 v18, v19, v18
	v_subrev_u32_e32 v19, s50, v18
	v_cmp_le_u32_e32 vcc, s50, v18
	v_cndmask_b32_e32 v18, v18, v19, vcc
	v_cndmask_b32_e32 v17, v17, v20, vcc
	v_add_u32_e32 v19, 1, v17
	v_cmp_le_u32_e32 vcc, s50, v18
	v_cndmask_b32_e32 v17, v17, v19, vcc
	v_mov_b32_e32 v18, 0
.LBB41_61:
	s_or_b64 exec, exec, s[4:5]
.LBB41_62:
	s_or_b64 exec, exec, s[24:25]
	v_or_b32_e32 v34, 0x900, v0
	v_mov_b32_e32 v19, s40
	v_cmp_gt_u32_e64 s[24:25], s70, v34
	v_mov_b32_e32 v20, s41
	s_and_saveexec_b64 s[26:27], s[24:25]
	s_cbranch_execz .LBB41_68
; %bb.63:
	v_mov_b32_e32 v20, s53
	v_add_co_u32_e32 v21, vcc, s52, v34
	v_addc_co_u32_e32 v22, vcc, 0, v20, vcc
	v_mov_b32_e32 v19, 0
	v_or_b32_e32 v20, s51, v22
	v_cmp_ne_u64_e32 vcc, 0, v[19:20]
                                        ; implicit-def: $vgpr19_vgpr20
	s_and_saveexec_b64 s[4:5], vcc
	s_xor_b64 s[28:29], exec, s[4:5]
	s_cbranch_execz .LBB41_65
; %bb.64:
	v_cvt_f32_u32_e32 v19, s50
	v_cvt_f32_u32_e32 v20, s51
	s_sub_u32 s30, 0, s50
	s_subb_u32 s31, 0, s51
	v_madmk_f32 v19, v20, 0x4f800000, v19
	v_rcp_f32_e32 v19, v19
	v_mul_f32_e32 v19, 0x5f7ffffc, v19
	v_mul_f32_e32 v20, 0x2f800000, v19
	v_trunc_f32_e32 v20, v20
	v_madmk_f32 v19, v20, 0xcf800000, v19
	v_cvt_u32_f32_e32 v20, v20
	v_cvt_u32_f32_e32 v19, v19
	v_readfirstlane_b32 s34, v20
	v_readfirstlane_b32 s4, v19
	s_mul_i32 s5, s30, s34
	s_mul_hi_u32 s64, s30, s4
	s_mul_i32 s35, s31, s4
	s_add_i32 s5, s64, s5
	s_mul_i32 s65, s30, s4
	s_add_i32 s5, s5, s35
	s_mul_i32 s64, s4, s5
	s_mul_hi_u32 s66, s4, s65
	s_mul_hi_u32 s35, s4, s5
	s_add_u32 s64, s66, s64
	s_addc_u32 s35, 0, s35
	s_mul_hi_u32 s67, s34, s65
	s_mul_i32 s65, s34, s65
	s_add_u32 s64, s64, s65
	s_mul_hi_u32 s66, s34, s5
	s_addc_u32 s35, s35, s67
	s_addc_u32 s64, s66, 0
	s_mul_i32 s5, s34, s5
	s_add_u32 s5, s35, s5
	s_addc_u32 s35, 0, s64
	s_add_u32 s64, s4, s5
	s_cselect_b64 s[4:5], -1, 0
	s_cmp_lg_u64 s[4:5], 0
	s_addc_u32 s34, s34, s35
	s_mul_i32 s4, s30, s34
	s_mul_hi_u32 s5, s30, s64
	s_add_i32 s4, s5, s4
	s_mul_i32 s31, s31, s64
	s_add_i32 s4, s4, s31
	s_mul_i32 s30, s30, s64
	s_mul_hi_u32 s31, s34, s30
	s_mul_i32 s35, s34, s30
	s_mul_i32 s66, s64, s4
	s_mul_hi_u32 s30, s64, s30
	s_mul_hi_u32 s65, s64, s4
	s_add_u32 s30, s30, s66
	s_addc_u32 s65, 0, s65
	s_add_u32 s30, s30, s35
	s_mul_hi_u32 s5, s34, s4
	s_addc_u32 s30, s65, s31
	s_addc_u32 s5, s5, 0
	s_mul_i32 s4, s34, s4
	s_add_u32 s4, s30, s4
	s_addc_u32 s30, 0, s5
	s_add_u32 s31, s64, s4
	s_cselect_b64 s[4:5], -1, 0
	s_cmp_lg_u64 s[4:5], 0
	s_addc_u32 s30, s34, s30
	v_mad_u64_u32 v[19:20], s[4:5], v21, s30, 0
	v_mul_hi_u32 v23, v21, s31
	v_add_co_u32_e32 v25, vcc, v23, v19
	v_addc_co_u32_e32 v26, vcc, 0, v20, vcc
	v_mad_u64_u32 v[19:20], s[4:5], v22, s31, 0
	v_mad_u64_u32 v[23:24], s[4:5], v22, s30, 0
	v_add_co_u32_e32 v19, vcc, v25, v19
	v_addc_co_u32_e32 v19, vcc, v26, v20, vcc
	v_addc_co_u32_e32 v20, vcc, 0, v24, vcc
	v_add_co_u32_e32 v23, vcc, v19, v23
	v_addc_co_u32_e32 v24, vcc, 0, v20, vcc
	v_mul_lo_u32 v25, s51, v23
	v_mul_lo_u32 v26, s50, v24
	v_mad_u64_u32 v[19:20], s[4:5], s50, v23, 0
	v_add3_u32 v20, v20, v26, v25
	v_sub_u32_e32 v25, v22, v20
	v_mov_b32_e32 v26, s51
	v_sub_co_u32_e32 v19, vcc, v21, v19
	v_subb_co_u32_e64 v21, s[4:5], v25, v26, vcc
	v_subrev_co_u32_e64 v25, s[4:5], s50, v19
	v_subbrev_co_u32_e64 v21, s[4:5], 0, v21, s[4:5]
	v_cmp_le_u32_e64 s[4:5], s51, v21
	v_cndmask_b32_e64 v26, 0, -1, s[4:5]
	v_cmp_le_u32_e64 s[4:5], s50, v25
	v_cndmask_b32_e64 v25, 0, -1, s[4:5]
	v_cmp_eq_u32_e64 s[4:5], s51, v21
	v_cndmask_b32_e64 v21, v26, v25, s[4:5]
	v_add_co_u32_e64 v25, s[4:5], 2, v23
	v_subb_co_u32_e32 v20, vcc, v22, v20, vcc
	v_addc_co_u32_e64 v26, s[4:5], 0, v24, s[4:5]
	v_cmp_le_u32_e32 vcc, s51, v20
	v_add_co_u32_e64 v27, s[4:5], 1, v23
	v_cndmask_b32_e64 v22, 0, -1, vcc
	v_cmp_le_u32_e32 vcc, s50, v19
	v_addc_co_u32_e64 v28, s[4:5], 0, v24, s[4:5]
	v_cndmask_b32_e64 v19, 0, -1, vcc
	v_cmp_eq_u32_e32 vcc, s51, v20
	v_cmp_ne_u32_e64 s[4:5], 0, v21
	v_cndmask_b32_e32 v19, v22, v19, vcc
	v_cndmask_b32_e64 v21, v28, v26, s[4:5]
	v_cmp_ne_u32_e32 vcc, 0, v19
	v_cndmask_b32_e64 v19, v27, v25, s[4:5]
	v_cndmask_b32_e32 v20, v24, v21, vcc
	v_cndmask_b32_e32 v19, v23, v19, vcc
                                        ; implicit-def: $vgpr21
.LBB41_65:
	s_andn2_saveexec_b64 s[4:5], s[28:29]
	s_cbranch_execz .LBB41_67
; %bb.66:
	v_cvt_f32_u32_e32 v19, s50
	s_sub_i32 s28, 0, s50
	v_rcp_iflag_f32_e32 v19, v19
	v_mul_f32_e32 v19, 0x4f7ffffe, v19
	v_cvt_u32_f32_e32 v19, v19
	v_mul_lo_u32 v20, s28, v19
	v_mul_hi_u32 v20, v19, v20
	v_add_u32_e32 v19, v19, v20
	v_mul_hi_u32 v19, v21, v19
	v_mul_lo_u32 v20, v19, s50
	v_add_u32_e32 v22, 1, v19
	v_sub_u32_e32 v20, v21, v20
	v_subrev_u32_e32 v21, s50, v20
	v_cmp_le_u32_e32 vcc, s50, v20
	v_cndmask_b32_e32 v20, v20, v21, vcc
	v_cndmask_b32_e32 v19, v19, v22, vcc
	v_add_u32_e32 v21, 1, v19
	v_cmp_le_u32_e32 vcc, s50, v20
	v_cndmask_b32_e32 v19, v19, v21, vcc
	v_mov_b32_e32 v20, 0
.LBB41_67:
	s_or_b64 exec, exec, s[4:5]
.LBB41_68:
	s_or_b64 exec, exec, s[26:27]
	v_or_b32_e32 v35, 0xa00, v0
	v_mov_b32_e32 v21, s40
	v_cmp_gt_u32_e64 s[26:27], s70, v35
	v_mov_b32_e32 v22, s41
	s_and_saveexec_b64 s[28:29], s[26:27]
	s_cbranch_execz .LBB41_74
; %bb.69:
	v_mov_b32_e32 v22, s53
	v_add_co_u32_e32 v23, vcc, s52, v35
	v_addc_co_u32_e32 v24, vcc, 0, v22, vcc
	v_mov_b32_e32 v21, 0
	v_or_b32_e32 v22, s51, v24
	v_cmp_ne_u64_e32 vcc, 0, v[21:22]
                                        ; implicit-def: $vgpr21_vgpr22
	s_and_saveexec_b64 s[4:5], vcc
	s_xor_b64 s[30:31], exec, s[4:5]
	s_cbranch_execz .LBB41_71
; %bb.70:
	v_cvt_f32_u32_e32 v21, s50
	v_cvt_f32_u32_e32 v22, s51
	s_sub_u32 s34, 0, s50
	s_subb_u32 s35, 0, s51
	v_madmk_f32 v21, v22, 0x4f800000, v21
	v_rcp_f32_e32 v21, v21
	v_mul_f32_e32 v21, 0x5f7ffffc, v21
	v_mul_f32_e32 v22, 0x2f800000, v21
	v_trunc_f32_e32 v22, v22
	v_madmk_f32 v21, v22, 0xcf800000, v21
	v_cvt_u32_f32_e32 v22, v22
	v_cvt_u32_f32_e32 v21, v21
	v_readfirstlane_b32 s64, v22
	v_readfirstlane_b32 s4, v21
	s_mul_i32 s5, s34, s64
	s_mul_hi_u32 s66, s34, s4
	s_mul_i32 s65, s35, s4
	s_add_i32 s5, s66, s5
	s_mul_i32 s67, s34, s4
	s_add_i32 s5, s5, s65
	s_mul_i32 s66, s4, s5
	s_mul_hi_u32 s71, s4, s67
	s_mul_hi_u32 s65, s4, s5
	s_add_u32 s66, s71, s66
	s_addc_u32 s65, 0, s65
	s_mul_hi_u32 s72, s64, s67
	s_mul_i32 s67, s64, s67
	s_add_u32 s66, s66, s67
	s_mul_hi_u32 s71, s64, s5
	s_addc_u32 s65, s65, s72
	s_addc_u32 s66, s71, 0
	s_mul_i32 s5, s64, s5
	s_add_u32 s5, s65, s5
	s_addc_u32 s65, 0, s66
	s_add_u32 s66, s4, s5
	s_cselect_b64 s[4:5], -1, 0
	s_cmp_lg_u64 s[4:5], 0
	s_addc_u32 s64, s64, s65
	s_mul_i32 s4, s34, s64
	s_mul_hi_u32 s5, s34, s66
	s_add_i32 s4, s5, s4
	s_mul_i32 s35, s35, s66
	s_add_i32 s4, s4, s35
	s_mul_i32 s34, s34, s66
	s_mul_hi_u32 s35, s64, s34
	s_mul_i32 s65, s64, s34
	s_mul_i32 s71, s66, s4
	s_mul_hi_u32 s34, s66, s34
	s_mul_hi_u32 s67, s66, s4
	s_add_u32 s34, s34, s71
	s_addc_u32 s67, 0, s67
	s_add_u32 s34, s34, s65
	s_mul_hi_u32 s5, s64, s4
	s_addc_u32 s34, s67, s35
	s_addc_u32 s5, s5, 0
	s_mul_i32 s4, s64, s4
	s_add_u32 s4, s34, s4
	s_addc_u32 s34, 0, s5
	s_add_u32 s35, s66, s4
	s_cselect_b64 s[4:5], -1, 0
	s_cmp_lg_u64 s[4:5], 0
	s_addc_u32 s34, s64, s34
	v_mad_u64_u32 v[21:22], s[4:5], v23, s34, 0
	v_mul_hi_u32 v25, v23, s35
	v_add_co_u32_e32 v27, vcc, v25, v21
	v_addc_co_u32_e32 v28, vcc, 0, v22, vcc
	v_mad_u64_u32 v[21:22], s[4:5], v24, s35, 0
	v_mad_u64_u32 v[25:26], s[4:5], v24, s34, 0
	v_add_co_u32_e32 v21, vcc, v27, v21
	v_addc_co_u32_e32 v21, vcc, v28, v22, vcc
	v_addc_co_u32_e32 v22, vcc, 0, v26, vcc
	v_add_co_u32_e32 v25, vcc, v21, v25
	v_addc_co_u32_e32 v26, vcc, 0, v22, vcc
	v_mul_lo_u32 v27, s51, v25
	v_mul_lo_u32 v28, s50, v26
	v_mad_u64_u32 v[21:22], s[4:5], s50, v25, 0
	v_add3_u32 v22, v22, v28, v27
	v_sub_u32_e32 v27, v24, v22
	v_mov_b32_e32 v28, s51
	v_sub_co_u32_e32 v21, vcc, v23, v21
	v_subb_co_u32_e64 v23, s[4:5], v27, v28, vcc
	v_subrev_co_u32_e64 v27, s[4:5], s50, v21
	v_subbrev_co_u32_e64 v23, s[4:5], 0, v23, s[4:5]
	v_cmp_le_u32_e64 s[4:5], s51, v23
	v_cndmask_b32_e64 v28, 0, -1, s[4:5]
	v_cmp_le_u32_e64 s[4:5], s50, v27
	v_cndmask_b32_e64 v27, 0, -1, s[4:5]
	v_cmp_eq_u32_e64 s[4:5], s51, v23
	v_cndmask_b32_e64 v23, v28, v27, s[4:5]
	v_add_co_u32_e64 v27, s[4:5], 2, v25
	v_subb_co_u32_e32 v22, vcc, v24, v22, vcc
	v_addc_co_u32_e64 v28, s[4:5], 0, v26, s[4:5]
	v_cmp_le_u32_e32 vcc, s51, v22
	v_add_co_u32_e64 v36, s[4:5], 1, v25
	v_cndmask_b32_e64 v24, 0, -1, vcc
	v_cmp_le_u32_e32 vcc, s50, v21
	v_addc_co_u32_e64 v37, s[4:5], 0, v26, s[4:5]
	v_cndmask_b32_e64 v21, 0, -1, vcc
	v_cmp_eq_u32_e32 vcc, s51, v22
	v_cmp_ne_u32_e64 s[4:5], 0, v23
	v_cndmask_b32_e32 v21, v24, v21, vcc
	v_cndmask_b32_e64 v23, v37, v28, s[4:5]
	v_cmp_ne_u32_e32 vcc, 0, v21
	v_cndmask_b32_e64 v21, v36, v27, s[4:5]
	v_cndmask_b32_e32 v22, v26, v23, vcc
	v_cndmask_b32_e32 v21, v25, v21, vcc
                                        ; implicit-def: $vgpr23
.LBB41_71:
	s_andn2_saveexec_b64 s[4:5], s[30:31]
	s_cbranch_execz .LBB41_73
; %bb.72:
	v_cvt_f32_u32_e32 v21, s50
	s_sub_i32 s30, 0, s50
	v_rcp_iflag_f32_e32 v21, v21
	v_mul_f32_e32 v21, 0x4f7ffffe, v21
	v_cvt_u32_f32_e32 v21, v21
	v_mul_lo_u32 v22, s30, v21
	v_mul_hi_u32 v22, v21, v22
	v_add_u32_e32 v21, v21, v22
	v_mul_hi_u32 v21, v23, v21
	v_mul_lo_u32 v22, v21, s50
	v_add_u32_e32 v24, 1, v21
	v_sub_u32_e32 v22, v23, v22
	v_subrev_u32_e32 v23, s50, v22
	v_cmp_le_u32_e32 vcc, s50, v22
	v_cndmask_b32_e32 v22, v22, v23, vcc
	v_cndmask_b32_e32 v21, v21, v24, vcc
	v_add_u32_e32 v23, 1, v21
	v_cmp_le_u32_e32 vcc, s50, v22
	v_cndmask_b32_e32 v21, v21, v23, vcc
	v_mov_b32_e32 v22, 0
.LBB41_73:
	s_or_b64 exec, exec, s[4:5]
.LBB41_74:
	s_or_b64 exec, exec, s[28:29]
	v_or_b32_e32 v36, 0xb00, v0
	v_mov_b32_e32 v23, s40
	v_cmp_gt_u32_e64 s[28:29], s70, v36
	v_mov_b32_e32 v24, s41
	s_and_saveexec_b64 s[30:31], s[28:29]
	s_cbranch_execz .LBB41_80
; %bb.75:
	v_mov_b32_e32 v24, s53
	v_add_co_u32_e32 v25, vcc, s52, v36
	v_addc_co_u32_e32 v26, vcc, 0, v24, vcc
	v_mov_b32_e32 v23, 0
	v_or_b32_e32 v24, s51, v26
	v_cmp_ne_u64_e32 vcc, 0, v[23:24]
                                        ; implicit-def: $vgpr23_vgpr24
	s_and_saveexec_b64 s[4:5], vcc
	s_xor_b64 s[34:35], exec, s[4:5]
	s_cbranch_execz .LBB41_77
; %bb.76:
	v_cvt_f32_u32_e32 v23, s50
	v_cvt_f32_u32_e32 v24, s51
	s_sub_u32 s64, 0, s50
	s_subb_u32 s65, 0, s51
	v_madmk_f32 v23, v24, 0x4f800000, v23
	v_rcp_f32_e32 v23, v23
	v_mul_f32_e32 v23, 0x5f7ffffc, v23
	v_mul_f32_e32 v24, 0x2f800000, v23
	v_trunc_f32_e32 v24, v24
	v_madmk_f32 v23, v24, 0xcf800000, v23
	v_cvt_u32_f32_e32 v24, v24
	v_cvt_u32_f32_e32 v23, v23
	v_readfirstlane_b32 s66, v24
	v_readfirstlane_b32 s4, v23
	s_mul_i32 s5, s64, s66
	s_mul_hi_u32 s71, s64, s4
	s_mul_i32 s67, s65, s4
	s_add_i32 s5, s71, s5
	s_mul_i32 s72, s64, s4
	s_add_i32 s5, s5, s67
	s_mul_i32 s71, s4, s5
	s_mul_hi_u32 s73, s4, s72
	s_mul_hi_u32 s67, s4, s5
	s_add_u32 s71, s73, s71
	s_addc_u32 s67, 0, s67
	s_mul_hi_u32 s74, s66, s72
	s_mul_i32 s72, s66, s72
	s_add_u32 s71, s71, s72
	s_mul_hi_u32 s73, s66, s5
	s_addc_u32 s67, s67, s74
	s_addc_u32 s71, s73, 0
	s_mul_i32 s5, s66, s5
	s_add_u32 s5, s67, s5
	s_addc_u32 s67, 0, s71
	s_add_u32 s71, s4, s5
	s_cselect_b64 s[4:5], -1, 0
	s_cmp_lg_u64 s[4:5], 0
	s_addc_u32 s66, s66, s67
	s_mul_i32 s4, s64, s66
	s_mul_hi_u32 s5, s64, s71
	s_add_i32 s4, s5, s4
	s_mul_i32 s65, s65, s71
	s_add_i32 s4, s4, s65
	s_mul_i32 s64, s64, s71
	s_mul_hi_u32 s65, s66, s64
	s_mul_i32 s67, s66, s64
	s_mul_i32 s73, s71, s4
	s_mul_hi_u32 s64, s71, s64
	s_mul_hi_u32 s72, s71, s4
	s_add_u32 s64, s64, s73
	s_addc_u32 s72, 0, s72
	s_add_u32 s64, s64, s67
	s_mul_hi_u32 s5, s66, s4
	s_addc_u32 s64, s72, s65
	s_addc_u32 s5, s5, 0
	s_mul_i32 s4, s66, s4
	s_add_u32 s4, s64, s4
	s_addc_u32 s64, 0, s5
	s_add_u32 s65, s71, s4
	s_cselect_b64 s[4:5], -1, 0
	s_cmp_lg_u64 s[4:5], 0
	s_addc_u32 s64, s66, s64
	v_mad_u64_u32 v[23:24], s[4:5], v25, s64, 0
	v_mul_hi_u32 v27, v25, s65
	v_add_co_u32_e32 v37, vcc, v27, v23
	v_addc_co_u32_e32 v38, vcc, 0, v24, vcc
	v_mad_u64_u32 v[23:24], s[4:5], v26, s65, 0
	v_mad_u64_u32 v[27:28], s[4:5], v26, s64, 0
	v_add_co_u32_e32 v23, vcc, v37, v23
	v_addc_co_u32_e32 v23, vcc, v38, v24, vcc
	v_addc_co_u32_e32 v24, vcc, 0, v28, vcc
	v_add_co_u32_e32 v27, vcc, v23, v27
	v_addc_co_u32_e32 v28, vcc, 0, v24, vcc
	v_mul_lo_u32 v37, s51, v27
	v_mul_lo_u32 v38, s50, v28
	v_mad_u64_u32 v[23:24], s[4:5], s50, v27, 0
	v_add3_u32 v24, v24, v38, v37
	v_sub_u32_e32 v37, v26, v24
	v_mov_b32_e32 v38, s51
	v_sub_co_u32_e32 v23, vcc, v25, v23
	v_subb_co_u32_e64 v25, s[4:5], v37, v38, vcc
	v_subrev_co_u32_e64 v37, s[4:5], s50, v23
	v_subbrev_co_u32_e64 v25, s[4:5], 0, v25, s[4:5]
	v_cmp_le_u32_e64 s[4:5], s51, v25
	v_cndmask_b32_e64 v38, 0, -1, s[4:5]
	v_cmp_le_u32_e64 s[4:5], s50, v37
	v_cndmask_b32_e64 v37, 0, -1, s[4:5]
	v_cmp_eq_u32_e64 s[4:5], s51, v25
	v_cndmask_b32_e64 v25, v38, v37, s[4:5]
	v_add_co_u32_e64 v37, s[4:5], 2, v27
	v_subb_co_u32_e32 v24, vcc, v26, v24, vcc
	v_addc_co_u32_e64 v38, s[4:5], 0, v28, s[4:5]
	v_cmp_le_u32_e32 vcc, s51, v24
	v_add_co_u32_e64 v39, s[4:5], 1, v27
	v_cndmask_b32_e64 v26, 0, -1, vcc
	v_cmp_le_u32_e32 vcc, s50, v23
	v_addc_co_u32_e64 v40, s[4:5], 0, v28, s[4:5]
	v_cndmask_b32_e64 v23, 0, -1, vcc
	v_cmp_eq_u32_e32 vcc, s51, v24
	v_cmp_ne_u32_e64 s[4:5], 0, v25
	v_cndmask_b32_e32 v23, v26, v23, vcc
	v_cndmask_b32_e64 v25, v40, v38, s[4:5]
	v_cmp_ne_u32_e32 vcc, 0, v23
	v_cndmask_b32_e64 v23, v39, v37, s[4:5]
	v_cndmask_b32_e32 v24, v28, v25, vcc
	v_cndmask_b32_e32 v23, v27, v23, vcc
                                        ; implicit-def: $vgpr25
.LBB41_77:
	s_andn2_saveexec_b64 s[4:5], s[34:35]
	s_cbranch_execz .LBB41_79
; %bb.78:
	v_cvt_f32_u32_e32 v23, s50
	s_sub_i32 s34, 0, s50
	v_rcp_iflag_f32_e32 v23, v23
	v_mul_f32_e32 v23, 0x4f7ffffe, v23
	v_cvt_u32_f32_e32 v23, v23
	v_mul_lo_u32 v24, s34, v23
	v_mul_hi_u32 v24, v23, v24
	v_add_u32_e32 v23, v23, v24
	v_mul_hi_u32 v23, v25, v23
	v_mul_lo_u32 v24, v23, s50
	v_add_u32_e32 v26, 1, v23
	v_sub_u32_e32 v24, v25, v24
	v_subrev_u32_e32 v25, s50, v24
	v_cmp_le_u32_e32 vcc, s50, v24
	v_cndmask_b32_e32 v24, v24, v25, vcc
	v_cndmask_b32_e32 v23, v23, v26, vcc
	v_add_u32_e32 v25, 1, v23
	v_cmp_le_u32_e32 vcc, s50, v24
	v_cndmask_b32_e32 v23, v23, v25, vcc
	v_mov_b32_e32 v24, 0
.LBB41_79:
	s_or_b64 exec, exec, s[4:5]
.LBB41_80:
	s_or_b64 exec, exec, s[30:31]
	v_or_b32_e32 v37, 0xc00, v0
	v_mov_b32_e32 v25, s40
	v_cmp_gt_u32_e64 s[30:31], s70, v37
	v_mov_b32_e32 v26, s41
	s_and_saveexec_b64 s[34:35], s[30:31]
	s_cbranch_execz .LBB41_86
; %bb.81:
	v_mov_b32_e32 v26, s53
	v_add_co_u32_e32 v27, vcc, s52, v37
	v_addc_co_u32_e32 v28, vcc, 0, v26, vcc
	v_mov_b32_e32 v25, 0
	v_or_b32_e32 v26, s51, v28
	v_cmp_ne_u64_e32 vcc, 0, v[25:26]
                                        ; implicit-def: $vgpr25_vgpr26
	s_and_saveexec_b64 s[4:5], vcc
	s_xor_b64 s[64:65], exec, s[4:5]
	s_cbranch_execz .LBB41_83
; %bb.82:
	v_cvt_f32_u32_e32 v25, s50
	v_cvt_f32_u32_e32 v26, s51
	s_sub_u32 s66, 0, s50
	s_subb_u32 s67, 0, s51
	v_madmk_f32 v25, v26, 0x4f800000, v25
	v_rcp_f32_e32 v25, v25
	v_mul_f32_e32 v25, 0x5f7ffffc, v25
	v_mul_f32_e32 v26, 0x2f800000, v25
	v_trunc_f32_e32 v26, v26
	v_madmk_f32 v25, v26, 0xcf800000, v25
	v_cvt_u32_f32_e32 v26, v26
	v_cvt_u32_f32_e32 v25, v25
	v_readfirstlane_b32 s71, v26
	v_readfirstlane_b32 s4, v25
	s_mul_i32 s5, s66, s71
	s_mul_hi_u32 s73, s66, s4
	s_mul_i32 s72, s67, s4
	s_add_i32 s5, s73, s5
	s_mul_i32 s74, s66, s4
	s_add_i32 s5, s5, s72
	s_mul_i32 s73, s4, s5
	s_mul_hi_u32 s75, s4, s74
	s_mul_hi_u32 s72, s4, s5
	s_add_u32 s73, s75, s73
	s_addc_u32 s72, 0, s72
	s_mul_hi_u32 s76, s71, s74
	s_mul_i32 s74, s71, s74
	s_add_u32 s73, s73, s74
	s_mul_hi_u32 s75, s71, s5
	s_addc_u32 s72, s72, s76
	s_addc_u32 s73, s75, 0
	s_mul_i32 s5, s71, s5
	s_add_u32 s5, s72, s5
	s_addc_u32 s72, 0, s73
	s_add_u32 s73, s4, s5
	s_cselect_b64 s[4:5], -1, 0
	s_cmp_lg_u64 s[4:5], 0
	s_addc_u32 s71, s71, s72
	s_mul_i32 s4, s66, s71
	s_mul_hi_u32 s5, s66, s73
	s_add_i32 s4, s5, s4
	s_mul_i32 s67, s67, s73
	s_add_i32 s4, s4, s67
	s_mul_i32 s66, s66, s73
	s_mul_hi_u32 s67, s71, s66
	s_mul_i32 s72, s71, s66
	s_mul_i32 s75, s73, s4
	s_mul_hi_u32 s66, s73, s66
	s_mul_hi_u32 s74, s73, s4
	s_add_u32 s66, s66, s75
	s_addc_u32 s74, 0, s74
	s_add_u32 s66, s66, s72
	s_mul_hi_u32 s5, s71, s4
	s_addc_u32 s66, s74, s67
	s_addc_u32 s5, s5, 0
	s_mul_i32 s4, s71, s4
	s_add_u32 s4, s66, s4
	s_addc_u32 s66, 0, s5
	s_add_u32 s67, s73, s4
	s_cselect_b64 s[4:5], -1, 0
	s_cmp_lg_u64 s[4:5], 0
	s_addc_u32 s66, s71, s66
	v_mad_u64_u32 v[25:26], s[4:5], v27, s66, 0
	v_mul_hi_u32 v38, v27, s67
	v_add_co_u32_e32 v40, vcc, v38, v25
	v_addc_co_u32_e32 v41, vcc, 0, v26, vcc
	v_mad_u64_u32 v[25:26], s[4:5], v28, s67, 0
	v_mad_u64_u32 v[38:39], s[4:5], v28, s66, 0
	v_add_co_u32_e32 v25, vcc, v40, v25
	v_addc_co_u32_e32 v25, vcc, v41, v26, vcc
	v_addc_co_u32_e32 v26, vcc, 0, v39, vcc
	v_add_co_u32_e32 v38, vcc, v25, v38
	v_addc_co_u32_e32 v39, vcc, 0, v26, vcc
	v_mul_lo_u32 v40, s51, v38
	v_mul_lo_u32 v41, s50, v39
	v_mad_u64_u32 v[25:26], s[4:5], s50, v38, 0
	v_add3_u32 v26, v26, v41, v40
	v_sub_u32_e32 v40, v28, v26
	v_mov_b32_e32 v41, s51
	v_sub_co_u32_e32 v25, vcc, v27, v25
	v_subb_co_u32_e64 v27, s[4:5], v40, v41, vcc
	v_subrev_co_u32_e64 v40, s[4:5], s50, v25
	v_subbrev_co_u32_e64 v27, s[4:5], 0, v27, s[4:5]
	v_cmp_le_u32_e64 s[4:5], s51, v27
	v_cndmask_b32_e64 v41, 0, -1, s[4:5]
	v_cmp_le_u32_e64 s[4:5], s50, v40
	v_cndmask_b32_e64 v40, 0, -1, s[4:5]
	v_cmp_eq_u32_e64 s[4:5], s51, v27
	v_cndmask_b32_e64 v27, v41, v40, s[4:5]
	v_add_co_u32_e64 v40, s[4:5], 2, v38
	v_subb_co_u32_e32 v26, vcc, v28, v26, vcc
	v_addc_co_u32_e64 v41, s[4:5], 0, v39, s[4:5]
	v_cmp_le_u32_e32 vcc, s51, v26
	v_add_co_u32_e64 v42, s[4:5], 1, v38
	v_cndmask_b32_e64 v28, 0, -1, vcc
	v_cmp_le_u32_e32 vcc, s50, v25
	v_addc_co_u32_e64 v43, s[4:5], 0, v39, s[4:5]
	v_cndmask_b32_e64 v25, 0, -1, vcc
	v_cmp_eq_u32_e32 vcc, s51, v26
	v_cmp_ne_u32_e64 s[4:5], 0, v27
	v_cndmask_b32_e32 v25, v28, v25, vcc
	v_cndmask_b32_e64 v27, v43, v41, s[4:5]
	v_cmp_ne_u32_e32 vcc, 0, v25
	v_cndmask_b32_e64 v25, v42, v40, s[4:5]
	v_cndmask_b32_e32 v26, v39, v27, vcc
	v_cndmask_b32_e32 v25, v38, v25, vcc
                                        ; implicit-def: $vgpr27
.LBB41_83:
	s_andn2_saveexec_b64 s[4:5], s[64:65]
	s_cbranch_execz .LBB41_85
; %bb.84:
	v_cvt_f32_u32_e32 v25, s50
	s_sub_i32 s64, 0, s50
	v_rcp_iflag_f32_e32 v25, v25
	v_mul_f32_e32 v25, 0x4f7ffffe, v25
	v_cvt_u32_f32_e32 v25, v25
	v_mul_lo_u32 v26, s64, v25
	v_mul_hi_u32 v26, v25, v26
	v_add_u32_e32 v25, v25, v26
	v_mul_hi_u32 v25, v27, v25
	v_mul_lo_u32 v26, v25, s50
	v_add_u32_e32 v28, 1, v25
	v_sub_u32_e32 v26, v27, v26
	v_subrev_u32_e32 v27, s50, v26
	v_cmp_le_u32_e32 vcc, s50, v26
	v_cndmask_b32_e32 v26, v26, v27, vcc
	v_cndmask_b32_e32 v25, v25, v28, vcc
	v_add_u32_e32 v27, 1, v25
	v_cmp_le_u32_e32 vcc, s50, v26
	v_cndmask_b32_e32 v25, v25, v27, vcc
	v_mov_b32_e32 v26, 0
.LBB41_85:
	s_or_b64 exec, exec, s[4:5]
.LBB41_86:
	s_or_b64 exec, exec, s[34:35]
	v_or_b32_e32 v38, 0xd00, v0
	v_mov_b32_e32 v27, s40
	v_cmp_gt_u32_e64 s[34:35], s70, v38
	v_mov_b32_e32 v28, s41
	s_and_saveexec_b64 s[64:65], s[34:35]
	s_cbranch_execz .LBB41_92
; %bb.87:
	v_mov_b32_e32 v28, s53
	v_add_co_u32_e32 v39, vcc, s52, v38
	v_addc_co_u32_e32 v40, vcc, 0, v28, vcc
	v_mov_b32_e32 v27, 0
	v_or_b32_e32 v28, s51, v40
	v_cmp_ne_u64_e32 vcc, 0, v[27:28]
                                        ; implicit-def: $vgpr27_vgpr28
	s_and_saveexec_b64 s[4:5], vcc
	s_xor_b64 s[66:67], exec, s[4:5]
	s_cbranch_execz .LBB41_89
; %bb.88:
	v_cvt_f32_u32_e32 v27, s50
	v_cvt_f32_u32_e32 v28, s51
	s_sub_u32 s71, 0, s50
	s_subb_u32 s72, 0, s51
	v_madmk_f32 v27, v28, 0x4f800000, v27
	v_rcp_f32_e32 v27, v27
	v_mul_f32_e32 v27, 0x5f7ffffc, v27
	v_mul_f32_e32 v28, 0x2f800000, v27
	v_trunc_f32_e32 v28, v28
	v_madmk_f32 v27, v28, 0xcf800000, v27
	v_cvt_u32_f32_e32 v28, v28
	v_cvt_u32_f32_e32 v27, v27
	v_readfirstlane_b32 s73, v28
	v_readfirstlane_b32 s4, v27
	s_mul_i32 s5, s71, s73
	s_mul_hi_u32 s75, s71, s4
	s_mul_i32 s74, s72, s4
	s_add_i32 s5, s75, s5
	s_mul_i32 s76, s71, s4
	s_add_i32 s5, s5, s74
	s_mul_i32 s75, s4, s5
	s_mul_hi_u32 s77, s4, s76
	s_mul_hi_u32 s74, s4, s5
	s_add_u32 s75, s77, s75
	s_addc_u32 s74, 0, s74
	s_mul_hi_u32 s78, s73, s76
	s_mul_i32 s76, s73, s76
	s_add_u32 s75, s75, s76
	s_mul_hi_u32 s77, s73, s5
	s_addc_u32 s74, s74, s78
	s_addc_u32 s75, s77, 0
	s_mul_i32 s5, s73, s5
	s_add_u32 s5, s74, s5
	s_addc_u32 s74, 0, s75
	s_add_u32 s75, s4, s5
	s_cselect_b64 s[4:5], -1, 0
	s_cmp_lg_u64 s[4:5], 0
	s_addc_u32 s73, s73, s74
	s_mul_i32 s4, s71, s73
	s_mul_hi_u32 s5, s71, s75
	s_add_i32 s4, s5, s4
	s_mul_i32 s72, s72, s75
	s_add_i32 s4, s4, s72
	s_mul_i32 s71, s71, s75
	s_mul_hi_u32 s72, s73, s71
	s_mul_i32 s74, s73, s71
	s_mul_i32 s77, s75, s4
	s_mul_hi_u32 s71, s75, s71
	s_mul_hi_u32 s76, s75, s4
	s_add_u32 s71, s71, s77
	s_addc_u32 s76, 0, s76
	s_add_u32 s71, s71, s74
	s_mul_hi_u32 s5, s73, s4
	s_addc_u32 s71, s76, s72
	s_addc_u32 s5, s5, 0
	s_mul_i32 s4, s73, s4
	s_add_u32 s4, s71, s4
	s_addc_u32 s71, 0, s5
	s_add_u32 s72, s75, s4
	s_cselect_b64 s[4:5], -1, 0
	s_cmp_lg_u64 s[4:5], 0
	s_addc_u32 s71, s73, s71
	v_mad_u64_u32 v[27:28], s[4:5], v39, s71, 0
	v_mul_hi_u32 v41, v39, s72
	v_add_co_u32_e32 v43, vcc, v41, v27
	v_addc_co_u32_e32 v44, vcc, 0, v28, vcc
	v_mad_u64_u32 v[27:28], s[4:5], v40, s72, 0
	v_mad_u64_u32 v[41:42], s[4:5], v40, s71, 0
	v_add_co_u32_e32 v27, vcc, v43, v27
	v_addc_co_u32_e32 v27, vcc, v44, v28, vcc
	v_addc_co_u32_e32 v28, vcc, 0, v42, vcc
	v_add_co_u32_e32 v41, vcc, v27, v41
	v_addc_co_u32_e32 v42, vcc, 0, v28, vcc
	v_mul_lo_u32 v43, s51, v41
	v_mul_lo_u32 v44, s50, v42
	v_mad_u64_u32 v[27:28], s[4:5], s50, v41, 0
	v_add3_u32 v28, v28, v44, v43
	v_sub_u32_e32 v43, v40, v28
	v_mov_b32_e32 v44, s51
	v_sub_co_u32_e32 v27, vcc, v39, v27
	v_subb_co_u32_e64 v39, s[4:5], v43, v44, vcc
	v_subrev_co_u32_e64 v43, s[4:5], s50, v27
	v_subbrev_co_u32_e64 v39, s[4:5], 0, v39, s[4:5]
	v_cmp_le_u32_e64 s[4:5], s51, v39
	v_cndmask_b32_e64 v44, 0, -1, s[4:5]
	v_cmp_le_u32_e64 s[4:5], s50, v43
	v_cndmask_b32_e64 v43, 0, -1, s[4:5]
	v_cmp_eq_u32_e64 s[4:5], s51, v39
	v_cndmask_b32_e64 v39, v44, v43, s[4:5]
	v_add_co_u32_e64 v43, s[4:5], 2, v41
	v_subb_co_u32_e32 v28, vcc, v40, v28, vcc
	v_addc_co_u32_e64 v44, s[4:5], 0, v42, s[4:5]
	v_cmp_le_u32_e32 vcc, s51, v28
	v_add_co_u32_e64 v45, s[4:5], 1, v41
	v_cndmask_b32_e64 v40, 0, -1, vcc
	v_cmp_le_u32_e32 vcc, s50, v27
	v_addc_co_u32_e64 v46, s[4:5], 0, v42, s[4:5]
	v_cndmask_b32_e64 v27, 0, -1, vcc
	v_cmp_eq_u32_e32 vcc, s51, v28
	v_cmp_ne_u32_e64 s[4:5], 0, v39
	v_cndmask_b32_e32 v27, v40, v27, vcc
	v_cndmask_b32_e64 v39, v46, v44, s[4:5]
	v_cmp_ne_u32_e32 vcc, 0, v27
	v_cndmask_b32_e64 v27, v45, v43, s[4:5]
	v_cndmask_b32_e32 v28, v42, v39, vcc
	v_cndmask_b32_e32 v27, v41, v27, vcc
                                        ; implicit-def: $vgpr39
.LBB41_89:
	s_andn2_saveexec_b64 s[4:5], s[66:67]
	s_cbranch_execz .LBB41_91
; %bb.90:
	v_cvt_f32_u32_e32 v27, s50
	s_sub_i32 s66, 0, s50
	v_rcp_iflag_f32_e32 v27, v27
	v_mul_f32_e32 v27, 0x4f7ffffe, v27
	v_cvt_u32_f32_e32 v27, v27
	v_mul_lo_u32 v28, s66, v27
	v_mul_hi_u32 v28, v27, v28
	v_add_u32_e32 v27, v27, v28
	v_mul_hi_u32 v27, v39, v27
	v_mul_lo_u32 v28, v27, s50
	v_add_u32_e32 v40, 1, v27
	v_sub_u32_e32 v28, v39, v28
	v_subrev_u32_e32 v39, s50, v28
	v_cmp_le_u32_e32 vcc, s50, v28
	v_cndmask_b32_e32 v28, v28, v39, vcc
	v_cndmask_b32_e32 v27, v27, v40, vcc
	v_add_u32_e32 v39, 1, v27
	v_cmp_le_u32_e32 vcc, s50, v28
	v_cndmask_b32_e32 v27, v27, v39, vcc
	v_mov_b32_e32 v28, 0
.LBB41_91:
	s_or_b64 exec, exec, s[4:5]
.LBB41_92:
	s_or_b64 exec, exec, s[64:65]
	v_lshlrev_b32_e32 v39, 3, v0
	s_movk_i32 s4, 0x68
	ds_write2st64_b64 v39, v[1:2], v[3:4] offset1:4
	ds_write2st64_b64 v39, v[5:6], v[7:8] offset0:8 offset1:12
	ds_write2st64_b64 v39, v[9:10], v[11:12] offset0:16 offset1:20
	;; [unrolled: 1-line block ×6, first 2 shown]
	v_mad_u32_u24 v39, v0, s4, v39
	s_waitcnt lgkmcnt(0)
	s_barrier
	ds_read_b128 v[25:28], v39
	ds_read_b128 v[21:24], v39 offset:16
	ds_read_b128 v[17:20], v39 offset:32
	;; [unrolled: 1-line block ×6, first 2 shown]
	s_cmp_eq_u64 s[62:63], 0
	s_cbranch_scc1 .LBB41_101
; %bb.93:
	s_andn2_b64 vcc, exec, s[54:55]
	s_cbranch_vccnz .LBB41_97
; %bb.94:
	s_lshl_b64 s[4:5], s[62:63], 3
	s_add_u32 s4, s46, s4
	s_addc_u32 s5, s47, s5
	s_add_u32 s4, s4, -8
	s_addc_u32 s5, s5, -1
	s_load_dwordx2 s[40:41], s[4:5], 0x0
	s_cbranch_execz .LBB41_98
	s_branch .LBB41_101
.LBB41_95:
                                        ; implicit-def: $sgpr6_sgpr7
                                        ; implicit-def: $vgpr78
                                        ; implicit-def: $vgpr29_vgpr30
                                        ; implicit-def: $vgpr55_vgpr56
                                        ; implicit-def: $vgpr57_vgpr58
                                        ; implicit-def: $vgpr59_vgpr60
                                        ; implicit-def: $vgpr61_vgpr62
                                        ; implicit-def: $vgpr63_vgpr64
                                        ; implicit-def: $vgpr65_vgpr66
                                        ; implicit-def: $vgpr67_vgpr68
                                        ; implicit-def: $vgpr69_vgpr70
                                        ; implicit-def: $vgpr71_vgpr72
                                        ; implicit-def: $vgpr73_vgpr74
                                        ; implicit-def: $vgpr75_vgpr76
                                        ; implicit-def: $vgpr53_vgpr54
                                        ; implicit-def: $vgpr51_vgpr52
                                        ; implicit-def: $vgpr49_vgpr50
                                        ; implicit-def: $vgpr47_vgpr48
                                        ; implicit-def: $vgpr45_vgpr46
                                        ; implicit-def: $vgpr43_vgpr44
                                        ; implicit-def: $vgpr41_vgpr42
                                        ; implicit-def: $vgpr39_vgpr40
                                        ; implicit-def: $vgpr37_vgpr38
                                        ; implicit-def: $vgpr35_vgpr36
                                        ; implicit-def: $vgpr33_vgpr34
                                        ; implicit-def: $vgpr31_vgpr32
	s_and_b64 vcc, exec, s[4:5]
	s_cbranch_vccnz .LBB41_145
	s_branch .LBB41_229
.LBB41_96:
                                        ; implicit-def: $sgpr40_sgpr41
	s_branch .LBB41_7
.LBB41_97:
                                        ; implicit-def: $sgpr40_sgpr41
.LBB41_98:
	s_add_u32 s4, s52, -1
	s_addc_u32 s5, s53, -1
	s_waitcnt lgkmcnt(0)
	s_or_b64 s[40:41], s[4:5], s[50:51]
	s_mov_b32 s40, 0
	s_cmp_lg_u64 s[40:41], 0
	s_mov_b64 s[64:65], -1
	s_cbranch_scc0 .LBB41_330
; %bb.99:
	v_cvt_f32_u32_e32 v40, s50
	v_cvt_f32_u32_e32 v41, s51
	s_sub_u32 s66, 0, s50
	s_subb_u32 s67, 0, s51
	v_madmk_f32 v40, v41, 0x4f800000, v40
	v_rcp_f32_e32 v40, v40
	v_mul_f32_e32 v40, 0x5f7ffffc, v40
	v_mul_f32_e32 v41, 0x2f800000, v40
	v_trunc_f32_e32 v41, v41
	v_madmk_f32 v40, v41, 0xcf800000, v40
	v_cvt_u32_f32_e32 v41, v41
	v_cvt_u32_f32_e32 v40, v40
	v_readfirstlane_b32 s71, v41
	v_readfirstlane_b32 s40, v40
	s_mul_i32 s41, s66, s71
	s_mul_hi_u32 s73, s66, s40
	s_mul_i32 s72, s67, s40
	s_add_i32 s41, s73, s41
	s_add_i32 s41, s41, s72
	s_mul_i32 s74, s66, s40
	s_mul_i32 s73, s40, s41
	s_mul_hi_u32 s75, s40, s74
	s_mul_hi_u32 s72, s40, s41
	s_add_u32 s73, s75, s73
	s_addc_u32 s72, 0, s72
	s_mul_hi_u32 s76, s71, s74
	s_mul_i32 s74, s71, s74
	s_add_u32 s73, s73, s74
	s_mul_hi_u32 s75, s71, s41
	s_addc_u32 s72, s72, s76
	s_addc_u32 s73, s75, 0
	s_mul_i32 s41, s71, s41
	s_add_u32 s41, s72, s41
	s_addc_u32 s72, 0, s73
	s_add_u32 s73, s40, s41
	s_cselect_b64 s[40:41], -1, 0
	s_cmp_lg_u64 s[40:41], 0
	s_addc_u32 s71, s71, s72
	s_mul_i32 s40, s66, s71
	s_mul_hi_u32 s41, s66, s73
	s_add_i32 s40, s41, s40
	s_mul_i32 s67, s67, s73
	s_add_i32 s40, s40, s67
	s_mul_i32 s66, s66, s73
	s_mul_hi_u32 s67, s71, s66
	s_mul_i32 s72, s71, s66
	s_mul_i32 s75, s73, s40
	s_mul_hi_u32 s66, s73, s66
	s_mul_hi_u32 s74, s73, s40
	s_add_u32 s66, s66, s75
	s_addc_u32 s74, 0, s74
	s_add_u32 s66, s66, s72
	s_mul_hi_u32 s41, s71, s40
	s_addc_u32 s66, s74, s67
	s_addc_u32 s41, s41, 0
	s_mul_i32 s40, s71, s40
	s_add_u32 s40, s66, s40
	s_addc_u32 s66, 0, s41
	s_add_u32 s67, s73, s40
	s_cselect_b64 s[40:41], -1, 0
	s_cmp_lg_u64 s[40:41], 0
	s_addc_u32 s40, s71, s66
	s_mul_i32 s66, s4, s40
	s_mul_hi_u32 s71, s4, s67
	s_mul_hi_u32 s41, s4, s40
	s_add_u32 s66, s71, s66
	s_addc_u32 s41, 0, s41
	s_mul_hi_u32 s72, s5, s67
	s_mul_i32 s67, s5, s67
	s_add_u32 s66, s66, s67
	s_mul_hi_u32 s71, s5, s40
	s_addc_u32 s41, s41, s72
	s_addc_u32 s66, s71, 0
	s_mul_i32 s40, s5, s40
	s_add_u32 s71, s41, s40
	s_addc_u32 s72, 0, s66
	s_mul_i32 s40, s50, s72
	s_mul_hi_u32 s41, s50, s71
	s_add_i32 s40, s41, s40
	s_mul_i32 s41, s51, s71
	s_add_i32 s73, s40, s41
	s_sub_i32 s66, s5, s73
	s_mul_i32 s40, s50, s71
	s_sub_u32 s74, s4, s40
	s_cselect_b64 s[40:41], -1, 0
	s_cmp_lg_u64 s[40:41], 0
	s_subb_u32 s75, s66, s51
	s_sub_u32 s76, s74, s50
	s_cselect_b64 s[66:67], -1, 0
	s_cmp_lg_u64 s[66:67], 0
	s_subb_u32 s66, s75, 0
	s_cmp_ge_u32 s66, s51
	s_cselect_b32 s67, -1, 0
	s_cmp_ge_u32 s76, s50
	s_cselect_b32 s75, -1, 0
	s_cmp_eq_u32 s66, s51
	s_cselect_b32 s66, s75, s67
	s_add_u32 s67, s71, 1
	s_addc_u32 s75, s72, 0
	s_add_u32 s76, s71, 2
	s_addc_u32 s77, s72, 0
	s_cmp_lg_u32 s66, 0
	s_cselect_b32 s66, s76, s67
	s_cselect_b32 s67, s77, s75
	s_cmp_lg_u64 s[40:41], 0
	s_subb_u32 s5, s5, s73
	s_cmp_ge_u32 s5, s51
	s_cselect_b32 s40, -1, 0
	s_cmp_ge_u32 s74, s50
	s_cselect_b32 s41, -1, 0
	s_cmp_eq_u32 s5, s51
	s_cselect_b32 s5, s41, s40
	s_cmp_lg_u32 s5, 0
	s_cselect_b32 s41, s67, s72
	s_cselect_b32 s40, s66, s71
	s_cbranch_execnz .LBB41_101
.LBB41_100:
	v_cvt_f32_u32_e32 v40, s50
	s_sub_i32 s5, 0, s50
	s_mov_b32 s41, 0
	v_rcp_iflag_f32_e32 v40, v40
	v_mul_f32_e32 v40, 0x4f7ffffe, v40
	v_cvt_u32_f32_e32 v40, v40
	v_readfirstlane_b32 s40, v40
	s_mul_i32 s5, s5, s40
	s_mul_hi_u32 s5, s40, s5
	s_add_i32 s40, s40, s5
	s_mul_hi_u32 s5, s4, s40
	s_mul_i32 s64, s5, s50
	s_sub_i32 s4, s4, s64
	s_add_i32 s40, s5, 1
	s_sub_i32 s64, s4, s50
	s_cmp_ge_u32 s4, s50
	s_cselect_b32 s5, s40, s5
	s_cselect_b32 s4, s64, s4
	s_add_i32 s40, s5, 1
	s_cmp_ge_u32 s4, s50
	s_cselect_b32 s40, s40, s5
.LBB41_101:
	s_movk_i32 s4, 0xff98
	s_waitcnt lgkmcnt(0)
	v_mov_b32_e32 v80, s41
	v_mad_i32_i24 v39, v0, s4, v39
	v_mov_b32_e32 v79, s40
	ds_write_b64 v39, v[7:8] offset:28672
	s_waitcnt lgkmcnt(0)
	s_barrier
	s_and_saveexec_b64 s[4:5], s[36:37]
; %bb.102:
	ds_read_b64 v[79:80], v39 offset:28664
; %bb.103:
	s_or_b64 exec, exec, s[4:5]
	s_waitcnt lgkmcnt(0)
	s_barrier
                                        ; implicit-def: $vgpr40
	s_and_saveexec_b64 s[4:5], s[6:7]
	s_cbranch_execnz .LBB41_204
; %bb.104:
	s_or_b64 exec, exec, s[4:5]
                                        ; implicit-def: $vgpr41
	s_and_saveexec_b64 s[4:5], s[8:9]
	s_cbranch_execnz .LBB41_205
.LBB41_105:
	s_or_b64 exec, exec, s[4:5]
                                        ; implicit-def: $vgpr42
	s_and_saveexec_b64 s[4:5], s[10:11]
	s_cbranch_execnz .LBB41_206
.LBB41_106:
	s_or_b64 exec, exec, s[4:5]
                                        ; implicit-def: $vgpr43
	s_and_saveexec_b64 s[4:5], s[12:13]
	s_cbranch_execnz .LBB41_207
.LBB41_107:
	s_or_b64 exec, exec, s[4:5]
                                        ; implicit-def: $vgpr44
	s_and_saveexec_b64 s[4:5], s[14:15]
	s_cbranch_execnz .LBB41_208
.LBB41_108:
	s_or_b64 exec, exec, s[4:5]
                                        ; implicit-def: $vgpr29
	s_and_saveexec_b64 s[4:5], s[16:17]
	s_cbranch_execnz .LBB41_209
.LBB41_109:
	s_or_b64 exec, exec, s[4:5]
                                        ; implicit-def: $vgpr30
	s_and_saveexec_b64 s[4:5], s[18:19]
	s_cbranch_execnz .LBB41_210
.LBB41_110:
	s_or_b64 exec, exec, s[4:5]
                                        ; implicit-def: $vgpr31
	s_and_saveexec_b64 s[4:5], s[20:21]
	s_cbranch_execnz .LBB41_211
.LBB41_111:
	s_or_b64 exec, exec, s[4:5]
                                        ; implicit-def: $vgpr32
	s_and_saveexec_b64 s[4:5], s[22:23]
	s_cbranch_execnz .LBB41_212
.LBB41_112:
	s_or_b64 exec, exec, s[4:5]
                                        ; implicit-def: $vgpr33
	s_and_saveexec_b64 s[4:5], s[24:25]
	s_cbranch_execnz .LBB41_213
.LBB41_113:
	s_or_b64 exec, exec, s[4:5]
                                        ; implicit-def: $vgpr34
	s_and_saveexec_b64 s[4:5], s[26:27]
	s_cbranch_execnz .LBB41_214
.LBB41_114:
	s_or_b64 exec, exec, s[4:5]
                                        ; implicit-def: $vgpr35
	s_and_saveexec_b64 s[4:5], s[28:29]
	s_cbranch_execnz .LBB41_215
.LBB41_115:
	s_or_b64 exec, exec, s[4:5]
                                        ; implicit-def: $vgpr36
	s_and_saveexec_b64 s[4:5], s[30:31]
	s_cbranch_execnz .LBB41_216
.LBB41_116:
	s_or_b64 exec, exec, s[4:5]
                                        ; implicit-def: $vgpr37
	s_and_saveexec_b64 s[4:5], s[34:35]
	s_cbranch_execz .LBB41_118
.LBB41_117:
	v_lshlrev_b32_e32 v37, 2, v38
	v_mov_b32_e32 v38, s69
	v_add_co_u32_e32 v37, vcc, s68, v37
	v_addc_co_u32_e32 v38, vcc, 0, v38, vcc
	flat_load_dword v37, v[37:38]
.LBB41_118:
	s_or_b64 exec, exec, s[4:5]
	v_lshlrev_b32_e32 v38, 2, v0
	v_sub_u32_e32 v81, v39, v38
	v_mul_u32_u24_e32 v77, 14, v0
	s_waitcnt vmcnt(0) lgkmcnt(0)
	ds_write2st64_b32 v81, v40, v41 offset1:4
	ds_write2st64_b32 v81, v42, v43 offset0:8 offset1:12
	ds_write2st64_b32 v81, v44, v29 offset0:16 offset1:20
	ds_write2st64_b32 v81, v30, v31 offset0:24 offset1:28
	ds_write2st64_b32 v81, v32, v33 offset0:32 offset1:36
	ds_write2st64_b32 v81, v34, v35 offset0:40 offset1:44
	ds_write2st64_b32 v81, v36, v37 offset0:48 offset1:52
	v_mov_b32_e32 v29, 0
	v_mov_b32_e32 v55, 0
	v_mov_b32_e32 v57, 0
	v_mov_b32_e32 v59, 0
	v_mov_b32_e32 v61, 0
	v_mov_b32_e32 v63, 0
	v_mov_b32_e32 v65, 0
	v_mov_b32_e32 v67, 0
	v_mov_b32_e32 v69, 0
	v_mov_b32_e32 v71, 0
	v_mov_b32_e32 v73, 0
	v_mov_b32_e32 v75, 0
	v_mov_b32_e32 v53, 0
	v_mov_b32_e32 v51, 0
	v_mov_b32_e32 v49, 0
	v_mov_b32_e32 v47, 0
	v_mov_b32_e32 v45, 0
	v_mov_b32_e32 v43, 0
	v_mov_b32_e32 v41, 0
	v_mov_b32_e32 v39, 0
	v_mov_b32_e32 v37, 0
	v_mov_b32_e32 v35, 0
	v_mov_b32_e32 v33, 0
	v_mov_b32_e32 v31, 0
	v_cmp_gt_u32_e32 vcc, s70, v77
	s_mov_b64 s[4:5], 0
	v_mov_b32_e32 v30, 0
	v_mov_b32_e32 v56, 0
	;; [unrolled: 1-line block ×24, first 2 shown]
	s_mov_b64 s[10:11], 0
	s_waitcnt lgkmcnt(0)
	s_barrier
                                        ; implicit-def: $sgpr6_sgpr7
                                        ; implicit-def: $vgpr78
	s_and_saveexec_b64 s[8:9], vcc
	s_cbranch_execz .LBB41_144
; %bb.119:
	v_mad_u32_u24 v29, v0, 52, v81
	ds_read_b32 v29, v29
	v_cmp_ne_u64_e32 vcc, v[79:80], v[25:26]
	v_or_b32_e32 v31, 1, v77
	v_cndmask_b32_e64 v30, 0, 1, vcc
	v_cmp_gt_u32_e32 vcc, s70, v31
	v_mov_b32_e32 v55, 0
	v_mov_b32_e32 v57, 0
	v_mov_b32_e32 v59, 0
	v_mov_b32_e32 v61, 0
	v_mov_b32_e32 v63, 0
	v_mov_b32_e32 v65, 0
	v_mov_b32_e32 v67, 0
	v_mov_b32_e32 v69, 0
	v_mov_b32_e32 v71, 0
	v_mov_b32_e32 v73, 0
	v_mov_b32_e32 v75, 0
	v_mov_b32_e32 v51, 0
	v_mov_b32_e32 v49, 0
	v_mov_b32_e32 v47, 0
	v_mov_b32_e32 v45, 0
	v_mov_b32_e32 v43, 0
	v_mov_b32_e32 v41, 0
	v_mov_b32_e32 v39, 0
	v_mov_b32_e32 v37, 0
	v_mov_b32_e32 v35, 0
	v_mov_b32_e32 v33, 0
	v_mov_b32_e32 v31, 0
	v_mov_b32_e32 v56, 0
	v_mov_b32_e32 v58, 0
	v_mov_b32_e32 v60, 0
	v_mov_b32_e32 v62, 0
	v_mov_b32_e32 v64, 0
	v_mov_b32_e32 v66, 0
	v_mov_b32_e32 v68, 0
	v_mov_b32_e32 v70, 0
	v_mov_b32_e32 v72, 0
	v_mov_b32_e32 v74, 0
	v_mov_b32_e32 v76, 0
	v_mov_b32_e32 v52, 0
	v_mov_b32_e32 v50, 0
	v_mov_b32_e32 v48, 0
	v_mov_b32_e32 v46, 0
	v_mov_b32_e32 v44, 0
	v_mov_b32_e32 v42, 0
	v_mov_b32_e32 v40, 0
	v_mov_b32_e32 v38, 0
	v_mov_b32_e32 v36, 0
	v_mov_b32_e32 v34, 0
	v_mov_b32_e32 v32, 0
	s_mov_b64 s[12:13], 0
                                        ; implicit-def: $sgpr6_sgpr7
                                        ; implicit-def: $vgpr78
	s_and_saveexec_b64 s[10:11], vcc
	s_cbranch_execz .LBB41_143
; %bb.120:
	v_mul_u32_u24_e32 v31, 52, v0
	v_add_u32_e32 v51, v81, v31
	ds_read2_b32 v[55:56], v51 offset0:1 offset1:2
	v_cmp_ne_u64_e32 vcc, v[25:26], v[27:28]
	v_add_u32_e32 v26, 2, v77
	v_mov_b32_e32 v57, 0
	v_mov_b32_e32 v59, 0
	;; [unrolled: 1-line block ×20, first 2 shown]
	v_cndmask_b32_e64 v25, 0, 1, vcc
	v_cmp_gt_u32_e32 vcc, s70, v26
	v_mov_b32_e32 v58, 0
	v_mov_b32_e32 v60, 0
	;; [unrolled: 1-line block ×20, first 2 shown]
	s_mov_b64 s[14:15], 0
                                        ; implicit-def: $sgpr6_sgpr7
                                        ; implicit-def: $vgpr78
	s_and_saveexec_b64 s[12:13], vcc
	s_cbranch_execz .LBB41_142
; %bb.121:
	v_cmp_ne_u64_e32 vcc, v[27:28], v[21:22]
	v_add_u32_e32 v26, 3, v77
	v_mov_b32_e32 v59, 0
	v_mov_b32_e32 v61, 0
	;; [unrolled: 1-line block ×18, first 2 shown]
	v_cndmask_b32_e64 v58, 0, 1, vcc
	v_cmp_gt_u32_e32 vcc, s70, v26
	v_mov_b32_e32 v60, 0
	v_mov_b32_e32 v62, 0
	;; [unrolled: 1-line block ×18, first 2 shown]
	s_mov_b64 s[16:17], 0
                                        ; implicit-def: $sgpr6_sgpr7
                                        ; implicit-def: $vgpr78
	s_and_saveexec_b64 s[14:15], vcc
	s_cbranch_execz .LBB41_141
; %bb.122:
	ds_read2_b32 v[59:60], v51 offset0:3 offset1:4
	v_cmp_ne_u64_e32 vcc, v[21:22], v[23:24]
	v_add_u32_e32 v22, 4, v77
	v_mov_b32_e32 v61, 0
	v_mov_b32_e32 v63, 0
	;; [unrolled: 1-line block ×16, first 2 shown]
	v_cndmask_b32_e64 v21, 0, 1, vcc
	v_cmp_gt_u32_e32 vcc, s70, v22
	v_mov_b32_e32 v62, 0
	v_mov_b32_e32 v64, 0
	;; [unrolled: 1-line block ×16, first 2 shown]
	s_mov_b64 s[18:19], 0
                                        ; implicit-def: $sgpr6_sgpr7
                                        ; implicit-def: $vgpr78
	s_and_saveexec_b64 s[16:17], vcc
	s_cbranch_execz .LBB41_140
; %bb.123:
	v_cmp_ne_u64_e32 vcc, v[23:24], v[17:18]
	v_add_u32_e32 v22, 5, v77
	v_mov_b32_e32 v63, 0
	v_mov_b32_e32 v65, 0
	;; [unrolled: 1-line block ×14, first 2 shown]
	v_cndmask_b32_e64 v62, 0, 1, vcc
	v_cmp_gt_u32_e32 vcc, s70, v22
	v_mov_b32_e32 v64, 0
	v_mov_b32_e32 v66, 0
	;; [unrolled: 1-line block ×14, first 2 shown]
	s_mov_b64 s[20:21], 0
                                        ; implicit-def: $sgpr6_sgpr7
                                        ; implicit-def: $vgpr78
	s_and_saveexec_b64 s[18:19], vcc
	s_cbranch_execz .LBB41_139
; %bb.124:
	ds_read2_b32 v[63:64], v51 offset0:5 offset1:6
	v_cmp_ne_u64_e32 vcc, v[17:18], v[19:20]
	v_add_u32_e32 v18, 6, v77
	v_mov_b32_e32 v65, 0
	v_mov_b32_e32 v67, 0
	;; [unrolled: 1-line block ×12, first 2 shown]
	v_cndmask_b32_e64 v17, 0, 1, vcc
	v_cmp_gt_u32_e32 vcc, s70, v18
	v_mov_b32_e32 v66, 0
	v_mov_b32_e32 v68, 0
	;; [unrolled: 1-line block ×12, first 2 shown]
	s_mov_b64 s[22:23], 0
                                        ; implicit-def: $sgpr6_sgpr7
                                        ; implicit-def: $vgpr78
	s_and_saveexec_b64 s[20:21], vcc
	s_cbranch_execz .LBB41_138
; %bb.125:
	v_cmp_ne_u64_e32 vcc, v[19:20], v[13:14]
	v_add_u32_e32 v18, 7, v77
	v_mov_b32_e32 v67, 0
	v_mov_b32_e32 v69, 0
	;; [unrolled: 1-line block ×10, first 2 shown]
	v_cndmask_b32_e64 v66, 0, 1, vcc
	v_cmp_gt_u32_e32 vcc, s70, v18
	v_mov_b32_e32 v68, 0
	v_mov_b32_e32 v70, 0
	;; [unrolled: 1-line block ×10, first 2 shown]
	s_mov_b64 s[24:25], 0
                                        ; implicit-def: $sgpr6_sgpr7
                                        ; implicit-def: $vgpr78
	s_and_saveexec_b64 s[22:23], vcc
	s_cbranch_execz .LBB41_137
; %bb.126:
	ds_read2_b32 v[67:68], v51 offset0:7 offset1:8
	v_cmp_ne_u64_e32 vcc, v[13:14], v[15:16]
	v_add_u32_e32 v14, 8, v77
	v_mov_b32_e32 v69, 0
	v_mov_b32_e32 v71, 0
	;; [unrolled: 1-line block ×8, first 2 shown]
	v_cndmask_b32_e64 v13, 0, 1, vcc
	v_cmp_gt_u32_e32 vcc, s70, v14
	v_mov_b32_e32 v70, 0
	v_mov_b32_e32 v72, 0
	;; [unrolled: 1-line block ×8, first 2 shown]
	s_mov_b64 s[26:27], 0
                                        ; implicit-def: $sgpr6_sgpr7
                                        ; implicit-def: $vgpr78
	s_and_saveexec_b64 s[24:25], vcc
	s_cbranch_execz .LBB41_136
; %bb.127:
	v_cmp_ne_u64_e32 vcc, v[15:16], v[9:10]
	v_add_u32_e32 v14, 9, v77
	v_mov_b32_e32 v71, 0
	v_mov_b32_e32 v73, 0
	;; [unrolled: 1-line block ×6, first 2 shown]
	v_cndmask_b32_e64 v70, 0, 1, vcc
	v_cmp_gt_u32_e32 vcc, s70, v14
	v_mov_b32_e32 v72, 0
	v_mov_b32_e32 v74, 0
	;; [unrolled: 1-line block ×6, first 2 shown]
	s_mov_b64 s[28:29], 0
                                        ; implicit-def: $sgpr6_sgpr7
                                        ; implicit-def: $vgpr78
	s_and_saveexec_b64 s[26:27], vcc
	s_cbranch_execz .LBB41_135
; %bb.128:
	ds_read2_b32 v[71:72], v51 offset0:9 offset1:10
	v_cmp_ne_u64_e32 vcc, v[9:10], v[11:12]
	v_add_u32_e32 v10, 10, v77
	v_mov_b32_e32 v73, 0
	v_mov_b32_e32 v75, 0
	;; [unrolled: 1-line block ×4, first 2 shown]
	v_cndmask_b32_e64 v9, 0, 1, vcc
	v_cmp_gt_u32_e32 vcc, s70, v10
	v_mov_b32_e32 v74, 0
	v_mov_b32_e32 v76, 0
	;; [unrolled: 1-line block ×4, first 2 shown]
	s_mov_b64 s[30:31], 0
                                        ; implicit-def: $sgpr6_sgpr7
                                        ; implicit-def: $vgpr78
	s_and_saveexec_b64 s[28:29], vcc
	s_cbranch_execz .LBB41_134
; %bb.129:
	v_cmp_ne_u64_e32 vcc, v[11:12], v[1:2]
	v_add_u32_e32 v10, 11, v77
	v_mov_b32_e32 v75, 0
	v_mov_b32_e32 v31, 0
	v_cndmask_b32_e64 v74, 0, 1, vcc
	v_cmp_gt_u32_e32 vcc, s70, v10
	v_mov_b32_e32 v76, 0
	v_mov_b32_e32 v32, 0
	s_mov_b64 s[34:35], 0
                                        ; implicit-def: $sgpr6_sgpr7
                                        ; implicit-def: $vgpr78
	s_and_saveexec_b64 s[30:31], vcc
	s_cbranch_execz .LBB41_133
; %bb.130:
	ds_read2_b32 v[75:76], v51 offset0:11 offset1:12
	v_cmp_ne_u64_e32 vcc, v[1:2], v[3:4]
	v_add_u32_e32 v2, 12, v77
	v_mov_b32_e32 v31, 0
	v_cndmask_b32_e64 v1, 0, 1, vcc
	v_cmp_gt_u32_e32 vcc, s70, v2
	v_mov_b32_e32 v32, 0
                                        ; implicit-def: $sgpr6_sgpr7
                                        ; implicit-def: $vgpr78
	s_and_saveexec_b64 s[40:41], vcc
	s_xor_b64 s[40:41], exec, s[40:41]
	s_cbranch_execz .LBB41_132
; %bb.131:
	ds_read_b32 v78, v51 offset:52
	v_cmp_ne_u64_e32 vcc, v[3:4], v[5:6]
	v_add_u32_e32 v2, 13, v77
	v_cmp_ne_u64_e64 s[6:7], v[5:6], v[7:8]
	v_cndmask_b32_e64 v32, 0, 1, vcc
	v_cmp_gt_u32_e32 vcc, s70, v2
	s_waitcnt lgkmcnt(1)
	v_mov_b32_e32 v31, v76
	s_and_b64 s[34:35], vcc, exec
.LBB41_132:
	s_or_b64 exec, exec, s[40:41]
	s_waitcnt lgkmcnt(0)
	v_mov_b32_e32 v76, v1
	s_and_b64 s[34:35], s[34:35], exec
.LBB41_133:
	s_or_b64 exec, exec, s[30:31]
	v_mov_b32_e32 v33, v75
	s_waitcnt lgkmcnt(0)
	v_mov_b32_e32 v73, v72
	s_and_b64 s[30:31], s[34:35], exec
	v_mov_b32_e32 v34, v76
.LBB41_134:
	s_or_b64 exec, exec, s[28:29]
	v_mov_b32_e32 v35, v73
	s_waitcnt lgkmcnt(0)
	v_mov_b32_e32 v72, v9
	s_and_b64 s[28:29], s[30:31], exec
	v_mov_b32_e32 v36, v74
.LBB41_135:
	s_or_b64 exec, exec, s[26:27]
	v_mov_b32_e32 v37, v71
	s_waitcnt lgkmcnt(0)
	v_mov_b32_e32 v69, v68
	s_and_b64 s[26:27], s[28:29], exec
	v_mov_b32_e32 v38, v72
.LBB41_136:
	s_or_b64 exec, exec, s[24:25]
	v_mov_b32_e32 v39, v69
	s_waitcnt lgkmcnt(0)
	v_mov_b32_e32 v68, v13
	s_and_b64 s[24:25], s[26:27], exec
	v_mov_b32_e32 v40, v70
.LBB41_137:
	s_or_b64 exec, exec, s[22:23]
	v_mov_b32_e32 v41, v67
	s_waitcnt lgkmcnt(0)
	v_mov_b32_e32 v65, v64
	s_and_b64 s[22:23], s[24:25], exec
	v_mov_b32_e32 v42, v68
.LBB41_138:
	s_or_b64 exec, exec, s[20:21]
	v_mov_b32_e32 v43, v65
	s_waitcnt lgkmcnt(0)
	v_mov_b32_e32 v64, v17
	s_and_b64 s[20:21], s[22:23], exec
	v_mov_b32_e32 v44, v66
.LBB41_139:
	s_or_b64 exec, exec, s[18:19]
	v_mov_b32_e32 v45, v63
	s_waitcnt lgkmcnt(0)
	v_mov_b32_e32 v61, v60
	s_and_b64 s[18:19], s[20:21], exec
	v_mov_b32_e32 v46, v64
.LBB41_140:
	s_or_b64 exec, exec, s[16:17]
	v_mov_b32_e32 v47, v61
	s_waitcnt lgkmcnt(0)
	v_mov_b32_e32 v60, v21
	s_and_b64 s[16:17], s[18:19], exec
	v_mov_b32_e32 v48, v62
.LBB41_141:
	s_or_b64 exec, exec, s[14:15]
	v_mov_b32_e32 v49, v59
	s_waitcnt lgkmcnt(0)
	v_mov_b32_e32 v57, v56
	s_and_b64 s[14:15], s[16:17], exec
	v_mov_b32_e32 v50, v60
.LBB41_142:
	s_or_b64 exec, exec, s[12:13]
	v_mov_b32_e32 v51, v57
	s_waitcnt lgkmcnt(0)
	v_mov_b32_e32 v56, v25
	s_and_b64 s[12:13], s[14:15], exec
	v_mov_b32_e32 v52, v58
.LBB41_143:
	s_or_b64 exec, exec, s[10:11]
	v_mov_b32_e32 v53, v55
	s_and_b64 s[10:11], s[12:13], exec
	v_mov_b32_e32 v54, v56
.LBB41_144:
	s_or_b64 exec, exec, s[8:9]
	s_and_b64 vcc, exec, s[4:5]
	s_cbranch_vccz .LBB41_229
.LBB41_145:
	v_mov_b32_e32 v2, s53
	v_add_co_u32_e32 v28, vcc, s52, v0
	v_addc_co_u32_e32 v27, vcc, 0, v2, vcc
	v_mov_b32_e32 v1, 0
	v_or_b32_e32 v2, s51, v27
	v_cmp_ne_u64_e32 vcc, 0, v[1:2]
                                        ; implicit-def: $vgpr1_vgpr2
	s_and_saveexec_b64 s[4:5], vcc
	s_xor_b64 s[6:7], exec, s[4:5]
	s_cbranch_execz .LBB41_147
; %bb.146:
	v_cvt_f32_u32_e32 v1, s50
	v_cvt_f32_u32_e32 v2, s51
	s_sub_u32 s8, 0, s50
	s_subb_u32 s9, 0, s51
	v_madmk_f32 v1, v2, 0x4f800000, v1
	v_rcp_f32_e32 v1, v1
	v_mul_f32_e32 v1, 0x5f7ffffc, v1
	v_mul_f32_e32 v2, 0x2f800000, v1
	v_trunc_f32_e32 v2, v2
	v_madmk_f32 v1, v2, 0xcf800000, v1
	v_cvt_u32_f32_e32 v2, v2
	v_cvt_u32_f32_e32 v1, v1
	v_readfirstlane_b32 s10, v2
	v_readfirstlane_b32 s4, v1
	s_mul_i32 s5, s8, s10
	s_mul_hi_u32 s12, s8, s4
	s_mul_i32 s11, s9, s4
	s_add_i32 s5, s12, s5
	s_mul_i32 s13, s8, s4
	s_add_i32 s5, s5, s11
	s_mul_i32 s12, s4, s5
	s_mul_hi_u32 s14, s4, s13
	s_mul_hi_u32 s11, s4, s5
	s_add_u32 s12, s14, s12
	s_addc_u32 s11, 0, s11
	s_mul_hi_u32 s15, s10, s13
	s_mul_i32 s13, s10, s13
	s_add_u32 s12, s12, s13
	s_mul_hi_u32 s14, s10, s5
	s_addc_u32 s11, s11, s15
	s_addc_u32 s12, s14, 0
	s_mul_i32 s5, s10, s5
	s_add_u32 s5, s11, s5
	s_addc_u32 s11, 0, s12
	s_add_u32 s12, s4, s5
	s_cselect_b64 s[4:5], -1, 0
	s_cmp_lg_u64 s[4:5], 0
	s_addc_u32 s10, s10, s11
	s_mul_i32 s4, s8, s10
	s_mul_hi_u32 s5, s8, s12
	s_add_i32 s4, s5, s4
	s_mul_i32 s9, s9, s12
	s_add_i32 s4, s4, s9
	s_mul_i32 s8, s8, s12
	s_mul_hi_u32 s9, s10, s8
	s_mul_i32 s11, s10, s8
	s_mul_i32 s14, s12, s4
	s_mul_hi_u32 s8, s12, s8
	s_mul_hi_u32 s13, s12, s4
	s_add_u32 s8, s8, s14
	s_addc_u32 s13, 0, s13
	s_add_u32 s8, s8, s11
	s_mul_hi_u32 s5, s10, s4
	s_addc_u32 s8, s13, s9
	s_addc_u32 s5, s5, 0
	s_mul_i32 s4, s10, s4
	s_add_u32 s4, s8, s4
	s_addc_u32 s8, 0, s5
	s_add_u32 s9, s12, s4
	s_cselect_b64 s[4:5], -1, 0
	s_cmp_lg_u64 s[4:5], 0
	s_addc_u32 s8, s10, s8
	v_mad_u64_u32 v[1:2], s[4:5], v28, s8, 0
	v_mul_hi_u32 v3, v28, s9
	v_add_co_u32_e32 v5, vcc, v3, v1
	v_addc_co_u32_e32 v6, vcc, 0, v2, vcc
	v_mad_u64_u32 v[1:2], s[4:5], v27, s9, 0
	v_mad_u64_u32 v[3:4], s[4:5], v27, s8, 0
	v_add_co_u32_e32 v1, vcc, v5, v1
	v_addc_co_u32_e32 v1, vcc, v6, v2, vcc
	v_addc_co_u32_e32 v2, vcc, 0, v4, vcc
	v_add_co_u32_e32 v3, vcc, v1, v3
	v_addc_co_u32_e32 v4, vcc, 0, v2, vcc
	v_mul_lo_u32 v5, s51, v3
	v_mul_lo_u32 v6, s50, v4
	v_mad_u64_u32 v[1:2], s[4:5], s50, v3, 0
	v_add3_u32 v2, v2, v6, v5
	v_sub_u32_e32 v5, v27, v2
	v_mov_b32_e32 v6, s51
	v_sub_co_u32_e32 v1, vcc, v28, v1
	v_subb_co_u32_e64 v5, s[4:5], v5, v6, vcc
	v_subrev_co_u32_e64 v6, s[4:5], s50, v1
	v_subbrev_co_u32_e64 v5, s[4:5], 0, v5, s[4:5]
	v_cmp_le_u32_e64 s[4:5], s51, v5
	v_cndmask_b32_e64 v7, 0, -1, s[4:5]
	v_cmp_le_u32_e64 s[4:5], s50, v6
	v_cndmask_b32_e64 v6, 0, -1, s[4:5]
	v_cmp_eq_u32_e64 s[4:5], s51, v5
	v_cndmask_b32_e64 v5, v7, v6, s[4:5]
	v_add_co_u32_e64 v6, s[4:5], 2, v3
	v_addc_co_u32_e64 v7, s[4:5], 0, v4, s[4:5]
	v_add_co_u32_e64 v8, s[4:5], 1, v3
	v_addc_co_u32_e64 v9, s[4:5], 0, v4, s[4:5]
	v_subb_co_u32_e32 v2, vcc, v27, v2, vcc
	v_cmp_ne_u32_e64 s[4:5], 0, v5
	v_cmp_le_u32_e32 vcc, s51, v2
	v_cndmask_b32_e64 v5, v9, v7, s[4:5]
	v_cndmask_b32_e64 v7, 0, -1, vcc
	v_cmp_le_u32_e32 vcc, s50, v1
	v_cndmask_b32_e64 v1, 0, -1, vcc
	v_cmp_eq_u32_e32 vcc, s51, v2
	v_cndmask_b32_e32 v1, v7, v1, vcc
	v_cmp_ne_u32_e32 vcc, 0, v1
	v_cndmask_b32_e64 v1, v8, v6, s[4:5]
	v_cndmask_b32_e32 v2, v4, v5, vcc
	v_cndmask_b32_e32 v1, v3, v1, vcc
.LBB41_147:
	s_andn2_saveexec_b64 s[4:5], s[6:7]
	s_cbranch_execz .LBB41_149
; %bb.148:
	v_cvt_f32_u32_e32 v1, s50
	s_sub_i32 s6, 0, s50
	v_rcp_iflag_f32_e32 v1, v1
	v_mul_f32_e32 v1, 0x4f7ffffe, v1
	v_cvt_u32_f32_e32 v1, v1
	v_mul_lo_u32 v2, s6, v1
	v_mul_hi_u32 v2, v1, v2
	v_add_u32_e32 v1, v1, v2
	v_mul_hi_u32 v1, v28, v1
	v_mul_lo_u32 v2, v1, s50
	v_add_u32_e32 v3, 1, v1
	v_sub_u32_e32 v2, v28, v2
	v_subrev_u32_e32 v4, s50, v2
	v_cmp_le_u32_e32 vcc, s50, v2
	v_cndmask_b32_e32 v2, v2, v4, vcc
	v_cndmask_b32_e32 v1, v1, v3, vcc
	v_add_u32_e32 v3, 1, v1
	v_cmp_le_u32_e32 vcc, s50, v2
	v_cndmask_b32_e32 v1, v1, v3, vcc
	v_mov_b32_e32 v2, 0
.LBB41_149:
	s_or_b64 exec, exec, s[4:5]
	v_add_co_u32_e32 v5, vcc, 0x100, v28
	v_addc_co_u32_e32 v6, vcc, 0, v27, vcc
	v_or_b32_e32 v4, s51, v6
	v_mov_b32_e32 v3, 0
	v_cmp_ne_u64_e32 vcc, 0, v[3:4]
                                        ; implicit-def: $vgpr3_vgpr4
	s_and_saveexec_b64 s[4:5], vcc
	s_xor_b64 s[6:7], exec, s[4:5]
	s_cbranch_execz .LBB41_151
; %bb.150:
	v_cvt_f32_u32_e32 v3, s50
	v_cvt_f32_u32_e32 v4, s51
	s_sub_u32 s8, 0, s50
	s_subb_u32 s9, 0, s51
	v_madmk_f32 v3, v4, 0x4f800000, v3
	v_rcp_f32_e32 v3, v3
	v_mul_f32_e32 v3, 0x5f7ffffc, v3
	v_mul_f32_e32 v4, 0x2f800000, v3
	v_trunc_f32_e32 v4, v4
	v_madmk_f32 v3, v4, 0xcf800000, v3
	v_cvt_u32_f32_e32 v4, v4
	v_cvt_u32_f32_e32 v3, v3
	v_readfirstlane_b32 s10, v4
	v_readfirstlane_b32 s4, v3
	s_mul_i32 s5, s8, s10
	s_mul_hi_u32 s12, s8, s4
	s_mul_i32 s11, s9, s4
	s_add_i32 s5, s12, s5
	s_mul_i32 s13, s8, s4
	s_add_i32 s5, s5, s11
	s_mul_i32 s12, s4, s5
	s_mul_hi_u32 s14, s4, s13
	s_mul_hi_u32 s11, s4, s5
	s_add_u32 s12, s14, s12
	s_addc_u32 s11, 0, s11
	s_mul_hi_u32 s15, s10, s13
	s_mul_i32 s13, s10, s13
	s_add_u32 s12, s12, s13
	s_mul_hi_u32 s14, s10, s5
	s_addc_u32 s11, s11, s15
	s_addc_u32 s12, s14, 0
	s_mul_i32 s5, s10, s5
	s_add_u32 s5, s11, s5
	s_addc_u32 s11, 0, s12
	s_add_u32 s12, s4, s5
	s_cselect_b64 s[4:5], -1, 0
	s_cmp_lg_u64 s[4:5], 0
	s_addc_u32 s10, s10, s11
	s_mul_i32 s4, s8, s10
	s_mul_hi_u32 s5, s8, s12
	s_add_i32 s4, s5, s4
	s_mul_i32 s9, s9, s12
	s_add_i32 s4, s4, s9
	s_mul_i32 s8, s8, s12
	s_mul_hi_u32 s9, s10, s8
	s_mul_i32 s11, s10, s8
	s_mul_i32 s14, s12, s4
	s_mul_hi_u32 s8, s12, s8
	s_mul_hi_u32 s13, s12, s4
	s_add_u32 s8, s8, s14
	s_addc_u32 s13, 0, s13
	s_add_u32 s8, s8, s11
	s_mul_hi_u32 s5, s10, s4
	s_addc_u32 s8, s13, s9
	s_addc_u32 s5, s5, 0
	s_mul_i32 s4, s10, s4
	s_add_u32 s4, s8, s4
	s_addc_u32 s8, 0, s5
	s_add_u32 s9, s12, s4
	s_cselect_b64 s[4:5], -1, 0
	s_cmp_lg_u64 s[4:5], 0
	s_addc_u32 s8, s10, s8
	v_mad_u64_u32 v[3:4], s[4:5], v5, s8, 0
	v_mul_hi_u32 v7, v5, s9
	v_add_co_u32_e32 v9, vcc, v7, v3
	v_addc_co_u32_e32 v10, vcc, 0, v4, vcc
	v_mad_u64_u32 v[3:4], s[4:5], v6, s9, 0
	v_mad_u64_u32 v[7:8], s[4:5], v6, s8, 0
	v_add_co_u32_e32 v3, vcc, v9, v3
	v_addc_co_u32_e32 v3, vcc, v10, v4, vcc
	v_addc_co_u32_e32 v4, vcc, 0, v8, vcc
	v_add_co_u32_e32 v7, vcc, v3, v7
	v_addc_co_u32_e32 v8, vcc, 0, v4, vcc
	v_mul_lo_u32 v9, s51, v7
	v_mul_lo_u32 v10, s50, v8
	v_mad_u64_u32 v[3:4], s[4:5], s50, v7, 0
	v_add3_u32 v4, v4, v10, v9
	v_sub_u32_e32 v9, v6, v4
	v_mov_b32_e32 v10, s51
	v_sub_co_u32_e32 v3, vcc, v5, v3
	v_subb_co_u32_e64 v5, s[4:5], v9, v10, vcc
	v_subrev_co_u32_e64 v9, s[4:5], s50, v3
	v_subbrev_co_u32_e64 v5, s[4:5], 0, v5, s[4:5]
	v_cmp_le_u32_e64 s[4:5], s51, v5
	v_cndmask_b32_e64 v10, 0, -1, s[4:5]
	v_cmp_le_u32_e64 s[4:5], s50, v9
	v_cndmask_b32_e64 v9, 0, -1, s[4:5]
	v_cmp_eq_u32_e64 s[4:5], s51, v5
	v_cndmask_b32_e64 v5, v10, v9, s[4:5]
	v_add_co_u32_e64 v9, s[4:5], 2, v7
	v_subb_co_u32_e32 v4, vcc, v6, v4, vcc
	v_addc_co_u32_e64 v10, s[4:5], 0, v8, s[4:5]
	v_cmp_le_u32_e32 vcc, s51, v4
	v_add_co_u32_e64 v11, s[4:5], 1, v7
	v_cndmask_b32_e64 v6, 0, -1, vcc
	v_cmp_le_u32_e32 vcc, s50, v3
	v_addc_co_u32_e64 v12, s[4:5], 0, v8, s[4:5]
	v_cndmask_b32_e64 v3, 0, -1, vcc
	v_cmp_eq_u32_e32 vcc, s51, v4
	v_cmp_ne_u32_e64 s[4:5], 0, v5
	v_cndmask_b32_e32 v3, v6, v3, vcc
	v_cndmask_b32_e64 v5, v12, v10, s[4:5]
	v_cmp_ne_u32_e32 vcc, 0, v3
	v_cndmask_b32_e64 v3, v11, v9, s[4:5]
	v_cndmask_b32_e32 v4, v8, v5, vcc
	v_cndmask_b32_e32 v3, v7, v3, vcc
                                        ; implicit-def: $vgpr5
.LBB41_151:
	s_andn2_saveexec_b64 s[4:5], s[6:7]
	s_cbranch_execz .LBB41_153
; %bb.152:
	v_cvt_f32_u32_e32 v3, s50
	s_sub_i32 s6, 0, s50
	v_rcp_iflag_f32_e32 v3, v3
	v_mul_f32_e32 v3, 0x4f7ffffe, v3
	v_cvt_u32_f32_e32 v3, v3
	v_mul_lo_u32 v4, s6, v3
	v_mul_hi_u32 v4, v3, v4
	v_add_u32_e32 v3, v3, v4
	v_mul_hi_u32 v3, v5, v3
	v_mul_lo_u32 v4, v3, s50
	v_add_u32_e32 v6, 1, v3
	v_sub_u32_e32 v4, v5, v4
	v_subrev_u32_e32 v5, s50, v4
	v_cmp_le_u32_e32 vcc, s50, v4
	v_cndmask_b32_e32 v4, v4, v5, vcc
	v_cndmask_b32_e32 v3, v3, v6, vcc
	v_add_u32_e32 v5, 1, v3
	v_cmp_le_u32_e32 vcc, s50, v4
	v_cndmask_b32_e32 v3, v3, v5, vcc
	v_mov_b32_e32 v4, 0
.LBB41_153:
	s_or_b64 exec, exec, s[4:5]
	v_add_co_u32_e32 v7, vcc, 0x200, v28
	v_addc_co_u32_e32 v8, vcc, 0, v27, vcc
	v_or_b32_e32 v6, s51, v8
	v_mov_b32_e32 v5, 0
	v_cmp_ne_u64_e32 vcc, 0, v[5:6]
                                        ; implicit-def: $vgpr5_vgpr6
	s_and_saveexec_b64 s[4:5], vcc
	s_xor_b64 s[6:7], exec, s[4:5]
	s_cbranch_execz .LBB41_155
; %bb.154:
	v_cvt_f32_u32_e32 v5, s50
	v_cvt_f32_u32_e32 v6, s51
	s_sub_u32 s8, 0, s50
	s_subb_u32 s9, 0, s51
	v_madmk_f32 v5, v6, 0x4f800000, v5
	v_rcp_f32_e32 v5, v5
	v_mul_f32_e32 v5, 0x5f7ffffc, v5
	v_mul_f32_e32 v6, 0x2f800000, v5
	v_trunc_f32_e32 v6, v6
	v_madmk_f32 v5, v6, 0xcf800000, v5
	v_cvt_u32_f32_e32 v6, v6
	v_cvt_u32_f32_e32 v5, v5
	v_readfirstlane_b32 s10, v6
	v_readfirstlane_b32 s4, v5
	s_mul_i32 s5, s8, s10
	s_mul_hi_u32 s12, s8, s4
	s_mul_i32 s11, s9, s4
	s_add_i32 s5, s12, s5
	s_mul_i32 s13, s8, s4
	s_add_i32 s5, s5, s11
	s_mul_i32 s12, s4, s5
	s_mul_hi_u32 s14, s4, s13
	s_mul_hi_u32 s11, s4, s5
	s_add_u32 s12, s14, s12
	s_addc_u32 s11, 0, s11
	s_mul_hi_u32 s15, s10, s13
	s_mul_i32 s13, s10, s13
	s_add_u32 s12, s12, s13
	s_mul_hi_u32 s14, s10, s5
	s_addc_u32 s11, s11, s15
	s_addc_u32 s12, s14, 0
	s_mul_i32 s5, s10, s5
	s_add_u32 s5, s11, s5
	s_addc_u32 s11, 0, s12
	s_add_u32 s12, s4, s5
	s_cselect_b64 s[4:5], -1, 0
	s_cmp_lg_u64 s[4:5], 0
	s_addc_u32 s10, s10, s11
	s_mul_i32 s4, s8, s10
	s_mul_hi_u32 s5, s8, s12
	s_add_i32 s4, s5, s4
	s_mul_i32 s9, s9, s12
	s_add_i32 s4, s4, s9
	s_mul_i32 s8, s8, s12
	s_mul_hi_u32 s9, s10, s8
	s_mul_i32 s11, s10, s8
	s_mul_i32 s14, s12, s4
	s_mul_hi_u32 s8, s12, s8
	s_mul_hi_u32 s13, s12, s4
	s_add_u32 s8, s8, s14
	s_addc_u32 s13, 0, s13
	s_add_u32 s8, s8, s11
	s_mul_hi_u32 s5, s10, s4
	s_addc_u32 s8, s13, s9
	s_addc_u32 s5, s5, 0
	s_mul_i32 s4, s10, s4
	s_add_u32 s4, s8, s4
	s_addc_u32 s8, 0, s5
	s_add_u32 s9, s12, s4
	s_cselect_b64 s[4:5], -1, 0
	s_cmp_lg_u64 s[4:5], 0
	s_addc_u32 s8, s10, s8
	v_mad_u64_u32 v[5:6], s[4:5], v7, s8, 0
	v_mul_hi_u32 v9, v7, s9
	v_add_co_u32_e32 v11, vcc, v9, v5
	v_addc_co_u32_e32 v12, vcc, 0, v6, vcc
	v_mad_u64_u32 v[5:6], s[4:5], v8, s9, 0
	v_mad_u64_u32 v[9:10], s[4:5], v8, s8, 0
	v_add_co_u32_e32 v5, vcc, v11, v5
	v_addc_co_u32_e32 v5, vcc, v12, v6, vcc
	v_addc_co_u32_e32 v6, vcc, 0, v10, vcc
	v_add_co_u32_e32 v9, vcc, v5, v9
	v_addc_co_u32_e32 v10, vcc, 0, v6, vcc
	v_mul_lo_u32 v11, s51, v9
	v_mul_lo_u32 v12, s50, v10
	v_mad_u64_u32 v[5:6], s[4:5], s50, v9, 0
	v_add3_u32 v6, v6, v12, v11
	v_sub_u32_e32 v11, v8, v6
	v_mov_b32_e32 v12, s51
	v_sub_co_u32_e32 v5, vcc, v7, v5
	v_subb_co_u32_e64 v7, s[4:5], v11, v12, vcc
	v_subrev_co_u32_e64 v11, s[4:5], s50, v5
	v_subbrev_co_u32_e64 v7, s[4:5], 0, v7, s[4:5]
	v_cmp_le_u32_e64 s[4:5], s51, v7
	v_cndmask_b32_e64 v12, 0, -1, s[4:5]
	v_cmp_le_u32_e64 s[4:5], s50, v11
	v_cndmask_b32_e64 v11, 0, -1, s[4:5]
	v_cmp_eq_u32_e64 s[4:5], s51, v7
	v_cndmask_b32_e64 v7, v12, v11, s[4:5]
	v_add_co_u32_e64 v11, s[4:5], 2, v9
	v_subb_co_u32_e32 v6, vcc, v8, v6, vcc
	v_addc_co_u32_e64 v12, s[4:5], 0, v10, s[4:5]
	v_cmp_le_u32_e32 vcc, s51, v6
	v_add_co_u32_e64 v13, s[4:5], 1, v9
	v_cndmask_b32_e64 v8, 0, -1, vcc
	v_cmp_le_u32_e32 vcc, s50, v5
	v_addc_co_u32_e64 v14, s[4:5], 0, v10, s[4:5]
	v_cndmask_b32_e64 v5, 0, -1, vcc
	v_cmp_eq_u32_e32 vcc, s51, v6
	v_cmp_ne_u32_e64 s[4:5], 0, v7
	v_cndmask_b32_e32 v5, v8, v5, vcc
	v_cndmask_b32_e64 v7, v14, v12, s[4:5]
	v_cmp_ne_u32_e32 vcc, 0, v5
	v_cndmask_b32_e64 v5, v13, v11, s[4:5]
	v_cndmask_b32_e32 v6, v10, v7, vcc
	v_cndmask_b32_e32 v5, v9, v5, vcc
                                        ; implicit-def: $vgpr7
.LBB41_155:
	s_andn2_saveexec_b64 s[4:5], s[6:7]
	s_cbranch_execz .LBB41_157
; %bb.156:
	v_cvt_f32_u32_e32 v5, s50
	s_sub_i32 s6, 0, s50
	v_rcp_iflag_f32_e32 v5, v5
	v_mul_f32_e32 v5, 0x4f7ffffe, v5
	v_cvt_u32_f32_e32 v5, v5
	v_mul_lo_u32 v6, s6, v5
	v_mul_hi_u32 v6, v5, v6
	v_add_u32_e32 v5, v5, v6
	v_mul_hi_u32 v5, v7, v5
	v_mul_lo_u32 v6, v5, s50
	v_add_u32_e32 v8, 1, v5
	v_sub_u32_e32 v6, v7, v6
	v_subrev_u32_e32 v7, s50, v6
	v_cmp_le_u32_e32 vcc, s50, v6
	v_cndmask_b32_e32 v6, v6, v7, vcc
	v_cndmask_b32_e32 v5, v5, v8, vcc
	v_add_u32_e32 v7, 1, v5
	v_cmp_le_u32_e32 vcc, s50, v6
	v_cndmask_b32_e32 v5, v5, v7, vcc
	v_mov_b32_e32 v6, 0
.LBB41_157:
	s_or_b64 exec, exec, s[4:5]
	v_add_co_u32_e32 v9, vcc, 0x300, v28
	v_addc_co_u32_e32 v10, vcc, 0, v27, vcc
	v_or_b32_e32 v8, s51, v10
	v_mov_b32_e32 v7, 0
	v_cmp_ne_u64_e32 vcc, 0, v[7:8]
                                        ; implicit-def: $vgpr7_vgpr8
	s_and_saveexec_b64 s[4:5], vcc
	s_xor_b64 s[6:7], exec, s[4:5]
	s_cbranch_execz .LBB41_159
; %bb.158:
	v_cvt_f32_u32_e32 v7, s50
	v_cvt_f32_u32_e32 v8, s51
	s_sub_u32 s8, 0, s50
	s_subb_u32 s9, 0, s51
	v_madmk_f32 v7, v8, 0x4f800000, v7
	v_rcp_f32_e32 v7, v7
	v_mul_f32_e32 v7, 0x5f7ffffc, v7
	v_mul_f32_e32 v8, 0x2f800000, v7
	v_trunc_f32_e32 v8, v8
	v_madmk_f32 v7, v8, 0xcf800000, v7
	v_cvt_u32_f32_e32 v8, v8
	v_cvt_u32_f32_e32 v7, v7
	v_readfirstlane_b32 s10, v8
	v_readfirstlane_b32 s4, v7
	s_mul_i32 s5, s8, s10
	s_mul_hi_u32 s12, s8, s4
	s_mul_i32 s11, s9, s4
	s_add_i32 s5, s12, s5
	s_mul_i32 s13, s8, s4
	s_add_i32 s5, s5, s11
	s_mul_i32 s12, s4, s5
	s_mul_hi_u32 s14, s4, s13
	s_mul_hi_u32 s11, s4, s5
	s_add_u32 s12, s14, s12
	s_addc_u32 s11, 0, s11
	s_mul_hi_u32 s15, s10, s13
	s_mul_i32 s13, s10, s13
	s_add_u32 s12, s12, s13
	s_mul_hi_u32 s14, s10, s5
	s_addc_u32 s11, s11, s15
	s_addc_u32 s12, s14, 0
	s_mul_i32 s5, s10, s5
	s_add_u32 s5, s11, s5
	s_addc_u32 s11, 0, s12
	s_add_u32 s12, s4, s5
	s_cselect_b64 s[4:5], -1, 0
	s_cmp_lg_u64 s[4:5], 0
	s_addc_u32 s10, s10, s11
	s_mul_i32 s4, s8, s10
	s_mul_hi_u32 s5, s8, s12
	s_add_i32 s4, s5, s4
	s_mul_i32 s9, s9, s12
	s_add_i32 s4, s4, s9
	s_mul_i32 s8, s8, s12
	s_mul_hi_u32 s9, s10, s8
	s_mul_i32 s11, s10, s8
	s_mul_i32 s14, s12, s4
	s_mul_hi_u32 s8, s12, s8
	s_mul_hi_u32 s13, s12, s4
	s_add_u32 s8, s8, s14
	s_addc_u32 s13, 0, s13
	s_add_u32 s8, s8, s11
	s_mul_hi_u32 s5, s10, s4
	s_addc_u32 s8, s13, s9
	s_addc_u32 s5, s5, 0
	s_mul_i32 s4, s10, s4
	s_add_u32 s4, s8, s4
	s_addc_u32 s8, 0, s5
	s_add_u32 s9, s12, s4
	s_cselect_b64 s[4:5], -1, 0
	s_cmp_lg_u64 s[4:5], 0
	s_addc_u32 s8, s10, s8
	v_mad_u64_u32 v[7:8], s[4:5], v9, s8, 0
	v_mul_hi_u32 v11, v9, s9
	v_add_co_u32_e32 v13, vcc, v11, v7
	v_addc_co_u32_e32 v14, vcc, 0, v8, vcc
	v_mad_u64_u32 v[7:8], s[4:5], v10, s9, 0
	v_mad_u64_u32 v[11:12], s[4:5], v10, s8, 0
	v_add_co_u32_e32 v7, vcc, v13, v7
	v_addc_co_u32_e32 v7, vcc, v14, v8, vcc
	v_addc_co_u32_e32 v8, vcc, 0, v12, vcc
	v_add_co_u32_e32 v11, vcc, v7, v11
	v_addc_co_u32_e32 v12, vcc, 0, v8, vcc
	v_mul_lo_u32 v13, s51, v11
	v_mul_lo_u32 v14, s50, v12
	v_mad_u64_u32 v[7:8], s[4:5], s50, v11, 0
	v_add3_u32 v8, v8, v14, v13
	v_sub_u32_e32 v13, v10, v8
	v_mov_b32_e32 v14, s51
	v_sub_co_u32_e32 v7, vcc, v9, v7
	v_subb_co_u32_e64 v9, s[4:5], v13, v14, vcc
	v_subrev_co_u32_e64 v13, s[4:5], s50, v7
	v_subbrev_co_u32_e64 v9, s[4:5], 0, v9, s[4:5]
	v_cmp_le_u32_e64 s[4:5], s51, v9
	v_cndmask_b32_e64 v14, 0, -1, s[4:5]
	v_cmp_le_u32_e64 s[4:5], s50, v13
	v_cndmask_b32_e64 v13, 0, -1, s[4:5]
	v_cmp_eq_u32_e64 s[4:5], s51, v9
	v_cndmask_b32_e64 v9, v14, v13, s[4:5]
	v_add_co_u32_e64 v13, s[4:5], 2, v11
	v_subb_co_u32_e32 v8, vcc, v10, v8, vcc
	v_addc_co_u32_e64 v14, s[4:5], 0, v12, s[4:5]
	v_cmp_le_u32_e32 vcc, s51, v8
	v_add_co_u32_e64 v15, s[4:5], 1, v11
	v_cndmask_b32_e64 v10, 0, -1, vcc
	v_cmp_le_u32_e32 vcc, s50, v7
	v_addc_co_u32_e64 v16, s[4:5], 0, v12, s[4:5]
	v_cndmask_b32_e64 v7, 0, -1, vcc
	v_cmp_eq_u32_e32 vcc, s51, v8
	v_cmp_ne_u32_e64 s[4:5], 0, v9
	v_cndmask_b32_e32 v7, v10, v7, vcc
	v_cndmask_b32_e64 v9, v16, v14, s[4:5]
	v_cmp_ne_u32_e32 vcc, 0, v7
	v_cndmask_b32_e64 v7, v15, v13, s[4:5]
	v_cndmask_b32_e32 v8, v12, v9, vcc
	v_cndmask_b32_e32 v7, v11, v7, vcc
                                        ; implicit-def: $vgpr9
.LBB41_159:
	s_andn2_saveexec_b64 s[4:5], s[6:7]
	s_cbranch_execz .LBB41_161
; %bb.160:
	v_cvt_f32_u32_e32 v7, s50
	s_sub_i32 s6, 0, s50
	v_rcp_iflag_f32_e32 v7, v7
	v_mul_f32_e32 v7, 0x4f7ffffe, v7
	v_cvt_u32_f32_e32 v7, v7
	v_mul_lo_u32 v8, s6, v7
	v_mul_hi_u32 v8, v7, v8
	v_add_u32_e32 v7, v7, v8
	v_mul_hi_u32 v7, v9, v7
	v_mul_lo_u32 v8, v7, s50
	v_add_u32_e32 v10, 1, v7
	v_sub_u32_e32 v8, v9, v8
	v_subrev_u32_e32 v9, s50, v8
	v_cmp_le_u32_e32 vcc, s50, v8
	v_cndmask_b32_e32 v8, v8, v9, vcc
	v_cndmask_b32_e32 v7, v7, v10, vcc
	v_add_u32_e32 v9, 1, v7
	v_cmp_le_u32_e32 vcc, s50, v8
	v_cndmask_b32_e32 v7, v7, v9, vcc
	v_mov_b32_e32 v8, 0
.LBB41_161:
	s_or_b64 exec, exec, s[4:5]
	v_add_co_u32_e32 v11, vcc, 0x400, v28
	v_addc_co_u32_e32 v12, vcc, 0, v27, vcc
	v_or_b32_e32 v10, s51, v12
	v_mov_b32_e32 v9, 0
	v_cmp_ne_u64_e32 vcc, 0, v[9:10]
                                        ; implicit-def: $vgpr9_vgpr10
	s_and_saveexec_b64 s[4:5], vcc
	s_xor_b64 s[6:7], exec, s[4:5]
	s_cbranch_execz .LBB41_163
; %bb.162:
	v_cvt_f32_u32_e32 v9, s50
	v_cvt_f32_u32_e32 v10, s51
	s_sub_u32 s8, 0, s50
	s_subb_u32 s9, 0, s51
	v_madmk_f32 v9, v10, 0x4f800000, v9
	v_rcp_f32_e32 v9, v9
	v_mul_f32_e32 v9, 0x5f7ffffc, v9
	v_mul_f32_e32 v10, 0x2f800000, v9
	v_trunc_f32_e32 v10, v10
	v_madmk_f32 v9, v10, 0xcf800000, v9
	v_cvt_u32_f32_e32 v10, v10
	v_cvt_u32_f32_e32 v9, v9
	v_readfirstlane_b32 s10, v10
	v_readfirstlane_b32 s4, v9
	s_mul_i32 s5, s8, s10
	s_mul_hi_u32 s12, s8, s4
	s_mul_i32 s11, s9, s4
	s_add_i32 s5, s12, s5
	s_mul_i32 s13, s8, s4
	s_add_i32 s5, s5, s11
	s_mul_i32 s12, s4, s5
	s_mul_hi_u32 s14, s4, s13
	s_mul_hi_u32 s11, s4, s5
	s_add_u32 s12, s14, s12
	s_addc_u32 s11, 0, s11
	s_mul_hi_u32 s15, s10, s13
	s_mul_i32 s13, s10, s13
	s_add_u32 s12, s12, s13
	s_mul_hi_u32 s14, s10, s5
	s_addc_u32 s11, s11, s15
	s_addc_u32 s12, s14, 0
	s_mul_i32 s5, s10, s5
	s_add_u32 s5, s11, s5
	s_addc_u32 s11, 0, s12
	s_add_u32 s12, s4, s5
	s_cselect_b64 s[4:5], -1, 0
	s_cmp_lg_u64 s[4:5], 0
	s_addc_u32 s10, s10, s11
	s_mul_i32 s4, s8, s10
	s_mul_hi_u32 s5, s8, s12
	s_add_i32 s4, s5, s4
	s_mul_i32 s9, s9, s12
	s_add_i32 s4, s4, s9
	s_mul_i32 s8, s8, s12
	s_mul_hi_u32 s9, s10, s8
	s_mul_i32 s11, s10, s8
	s_mul_i32 s14, s12, s4
	s_mul_hi_u32 s8, s12, s8
	s_mul_hi_u32 s13, s12, s4
	s_add_u32 s8, s8, s14
	s_addc_u32 s13, 0, s13
	s_add_u32 s8, s8, s11
	s_mul_hi_u32 s5, s10, s4
	s_addc_u32 s8, s13, s9
	s_addc_u32 s5, s5, 0
	s_mul_i32 s4, s10, s4
	s_add_u32 s4, s8, s4
	s_addc_u32 s8, 0, s5
	s_add_u32 s9, s12, s4
	s_cselect_b64 s[4:5], -1, 0
	s_cmp_lg_u64 s[4:5], 0
	s_addc_u32 s8, s10, s8
	v_mad_u64_u32 v[9:10], s[4:5], v11, s8, 0
	v_mul_hi_u32 v13, v11, s9
	v_add_co_u32_e32 v15, vcc, v13, v9
	v_addc_co_u32_e32 v16, vcc, 0, v10, vcc
	v_mad_u64_u32 v[9:10], s[4:5], v12, s9, 0
	v_mad_u64_u32 v[13:14], s[4:5], v12, s8, 0
	v_add_co_u32_e32 v9, vcc, v15, v9
	v_addc_co_u32_e32 v9, vcc, v16, v10, vcc
	v_addc_co_u32_e32 v10, vcc, 0, v14, vcc
	v_add_co_u32_e32 v13, vcc, v9, v13
	v_addc_co_u32_e32 v14, vcc, 0, v10, vcc
	v_mul_lo_u32 v15, s51, v13
	v_mul_lo_u32 v16, s50, v14
	v_mad_u64_u32 v[9:10], s[4:5], s50, v13, 0
	v_add3_u32 v10, v10, v16, v15
	v_sub_u32_e32 v15, v12, v10
	v_mov_b32_e32 v16, s51
	v_sub_co_u32_e32 v9, vcc, v11, v9
	v_subb_co_u32_e64 v11, s[4:5], v15, v16, vcc
	v_subrev_co_u32_e64 v15, s[4:5], s50, v9
	v_subbrev_co_u32_e64 v11, s[4:5], 0, v11, s[4:5]
	v_cmp_le_u32_e64 s[4:5], s51, v11
	v_cndmask_b32_e64 v16, 0, -1, s[4:5]
	v_cmp_le_u32_e64 s[4:5], s50, v15
	v_cndmask_b32_e64 v15, 0, -1, s[4:5]
	v_cmp_eq_u32_e64 s[4:5], s51, v11
	v_cndmask_b32_e64 v11, v16, v15, s[4:5]
	v_add_co_u32_e64 v15, s[4:5], 2, v13
	v_subb_co_u32_e32 v10, vcc, v12, v10, vcc
	v_addc_co_u32_e64 v16, s[4:5], 0, v14, s[4:5]
	v_cmp_le_u32_e32 vcc, s51, v10
	v_add_co_u32_e64 v17, s[4:5], 1, v13
	v_cndmask_b32_e64 v12, 0, -1, vcc
	v_cmp_le_u32_e32 vcc, s50, v9
	v_addc_co_u32_e64 v18, s[4:5], 0, v14, s[4:5]
	v_cndmask_b32_e64 v9, 0, -1, vcc
	v_cmp_eq_u32_e32 vcc, s51, v10
	v_cmp_ne_u32_e64 s[4:5], 0, v11
	v_cndmask_b32_e32 v9, v12, v9, vcc
	v_cndmask_b32_e64 v11, v18, v16, s[4:5]
	v_cmp_ne_u32_e32 vcc, 0, v9
	v_cndmask_b32_e64 v9, v17, v15, s[4:5]
	v_cndmask_b32_e32 v10, v14, v11, vcc
	v_cndmask_b32_e32 v9, v13, v9, vcc
                                        ; implicit-def: $vgpr11
.LBB41_163:
	s_andn2_saveexec_b64 s[4:5], s[6:7]
	s_cbranch_execz .LBB41_165
; %bb.164:
	v_cvt_f32_u32_e32 v9, s50
	s_sub_i32 s6, 0, s50
	v_rcp_iflag_f32_e32 v9, v9
	v_mul_f32_e32 v9, 0x4f7ffffe, v9
	v_cvt_u32_f32_e32 v9, v9
	v_mul_lo_u32 v10, s6, v9
	v_mul_hi_u32 v10, v9, v10
	v_add_u32_e32 v9, v9, v10
	v_mul_hi_u32 v9, v11, v9
	v_mul_lo_u32 v10, v9, s50
	v_add_u32_e32 v12, 1, v9
	v_sub_u32_e32 v10, v11, v10
	v_subrev_u32_e32 v11, s50, v10
	v_cmp_le_u32_e32 vcc, s50, v10
	v_cndmask_b32_e32 v10, v10, v11, vcc
	v_cndmask_b32_e32 v9, v9, v12, vcc
	v_add_u32_e32 v11, 1, v9
	v_cmp_le_u32_e32 vcc, s50, v10
	v_cndmask_b32_e32 v9, v9, v11, vcc
	v_mov_b32_e32 v10, 0
.LBB41_165:
	s_or_b64 exec, exec, s[4:5]
	v_add_co_u32_e32 v13, vcc, 0x500, v28
	v_addc_co_u32_e32 v14, vcc, 0, v27, vcc
	v_or_b32_e32 v12, s51, v14
	v_mov_b32_e32 v11, 0
	v_cmp_ne_u64_e32 vcc, 0, v[11:12]
                                        ; implicit-def: $vgpr11_vgpr12
	s_and_saveexec_b64 s[4:5], vcc
	s_xor_b64 s[6:7], exec, s[4:5]
	s_cbranch_execz .LBB41_167
; %bb.166:
	v_cvt_f32_u32_e32 v11, s50
	v_cvt_f32_u32_e32 v12, s51
	s_sub_u32 s8, 0, s50
	s_subb_u32 s9, 0, s51
	v_madmk_f32 v11, v12, 0x4f800000, v11
	v_rcp_f32_e32 v11, v11
	v_mul_f32_e32 v11, 0x5f7ffffc, v11
	v_mul_f32_e32 v12, 0x2f800000, v11
	v_trunc_f32_e32 v12, v12
	v_madmk_f32 v11, v12, 0xcf800000, v11
	v_cvt_u32_f32_e32 v12, v12
	v_cvt_u32_f32_e32 v11, v11
	v_readfirstlane_b32 s10, v12
	v_readfirstlane_b32 s4, v11
	s_mul_i32 s5, s8, s10
	s_mul_hi_u32 s12, s8, s4
	s_mul_i32 s11, s9, s4
	s_add_i32 s5, s12, s5
	s_mul_i32 s13, s8, s4
	s_add_i32 s5, s5, s11
	s_mul_i32 s12, s4, s5
	s_mul_hi_u32 s14, s4, s13
	s_mul_hi_u32 s11, s4, s5
	s_add_u32 s12, s14, s12
	s_addc_u32 s11, 0, s11
	s_mul_hi_u32 s15, s10, s13
	s_mul_i32 s13, s10, s13
	s_add_u32 s12, s12, s13
	s_mul_hi_u32 s14, s10, s5
	s_addc_u32 s11, s11, s15
	s_addc_u32 s12, s14, 0
	s_mul_i32 s5, s10, s5
	s_add_u32 s5, s11, s5
	s_addc_u32 s11, 0, s12
	s_add_u32 s12, s4, s5
	s_cselect_b64 s[4:5], -1, 0
	s_cmp_lg_u64 s[4:5], 0
	s_addc_u32 s10, s10, s11
	s_mul_i32 s4, s8, s10
	s_mul_hi_u32 s5, s8, s12
	s_add_i32 s4, s5, s4
	s_mul_i32 s9, s9, s12
	s_add_i32 s4, s4, s9
	s_mul_i32 s8, s8, s12
	s_mul_hi_u32 s9, s10, s8
	s_mul_i32 s11, s10, s8
	s_mul_i32 s14, s12, s4
	s_mul_hi_u32 s8, s12, s8
	s_mul_hi_u32 s13, s12, s4
	s_add_u32 s8, s8, s14
	s_addc_u32 s13, 0, s13
	s_add_u32 s8, s8, s11
	s_mul_hi_u32 s5, s10, s4
	s_addc_u32 s8, s13, s9
	s_addc_u32 s5, s5, 0
	s_mul_i32 s4, s10, s4
	s_add_u32 s4, s8, s4
	s_addc_u32 s8, 0, s5
	s_add_u32 s9, s12, s4
	s_cselect_b64 s[4:5], -1, 0
	s_cmp_lg_u64 s[4:5], 0
	s_addc_u32 s8, s10, s8
	v_mad_u64_u32 v[11:12], s[4:5], v13, s8, 0
	v_mul_hi_u32 v15, v13, s9
	v_add_co_u32_e32 v17, vcc, v15, v11
	v_addc_co_u32_e32 v18, vcc, 0, v12, vcc
	v_mad_u64_u32 v[11:12], s[4:5], v14, s9, 0
	v_mad_u64_u32 v[15:16], s[4:5], v14, s8, 0
	v_add_co_u32_e32 v11, vcc, v17, v11
	v_addc_co_u32_e32 v11, vcc, v18, v12, vcc
	v_addc_co_u32_e32 v12, vcc, 0, v16, vcc
	v_add_co_u32_e32 v15, vcc, v11, v15
	v_addc_co_u32_e32 v16, vcc, 0, v12, vcc
	v_mul_lo_u32 v17, s51, v15
	v_mul_lo_u32 v18, s50, v16
	v_mad_u64_u32 v[11:12], s[4:5], s50, v15, 0
	v_add3_u32 v12, v12, v18, v17
	v_sub_u32_e32 v17, v14, v12
	v_mov_b32_e32 v18, s51
	v_sub_co_u32_e32 v11, vcc, v13, v11
	v_subb_co_u32_e64 v13, s[4:5], v17, v18, vcc
	v_subrev_co_u32_e64 v17, s[4:5], s50, v11
	v_subbrev_co_u32_e64 v13, s[4:5], 0, v13, s[4:5]
	v_cmp_le_u32_e64 s[4:5], s51, v13
	v_cndmask_b32_e64 v18, 0, -1, s[4:5]
	v_cmp_le_u32_e64 s[4:5], s50, v17
	v_cndmask_b32_e64 v17, 0, -1, s[4:5]
	v_cmp_eq_u32_e64 s[4:5], s51, v13
	v_cndmask_b32_e64 v13, v18, v17, s[4:5]
	v_add_co_u32_e64 v17, s[4:5], 2, v15
	v_subb_co_u32_e32 v12, vcc, v14, v12, vcc
	v_addc_co_u32_e64 v18, s[4:5], 0, v16, s[4:5]
	v_cmp_le_u32_e32 vcc, s51, v12
	v_add_co_u32_e64 v19, s[4:5], 1, v15
	v_cndmask_b32_e64 v14, 0, -1, vcc
	v_cmp_le_u32_e32 vcc, s50, v11
	v_addc_co_u32_e64 v20, s[4:5], 0, v16, s[4:5]
	v_cndmask_b32_e64 v11, 0, -1, vcc
	v_cmp_eq_u32_e32 vcc, s51, v12
	v_cmp_ne_u32_e64 s[4:5], 0, v13
	v_cndmask_b32_e32 v11, v14, v11, vcc
	v_cndmask_b32_e64 v13, v20, v18, s[4:5]
	v_cmp_ne_u32_e32 vcc, 0, v11
	v_cndmask_b32_e64 v11, v19, v17, s[4:5]
	v_cndmask_b32_e32 v12, v16, v13, vcc
	v_cndmask_b32_e32 v11, v15, v11, vcc
                                        ; implicit-def: $vgpr13
.LBB41_167:
	s_andn2_saveexec_b64 s[4:5], s[6:7]
	s_cbranch_execz .LBB41_169
; %bb.168:
	v_cvt_f32_u32_e32 v11, s50
	s_sub_i32 s6, 0, s50
	v_rcp_iflag_f32_e32 v11, v11
	v_mul_f32_e32 v11, 0x4f7ffffe, v11
	v_cvt_u32_f32_e32 v11, v11
	v_mul_lo_u32 v12, s6, v11
	v_mul_hi_u32 v12, v11, v12
	v_add_u32_e32 v11, v11, v12
	v_mul_hi_u32 v11, v13, v11
	v_mul_lo_u32 v12, v11, s50
	v_add_u32_e32 v14, 1, v11
	v_sub_u32_e32 v12, v13, v12
	v_subrev_u32_e32 v13, s50, v12
	v_cmp_le_u32_e32 vcc, s50, v12
	v_cndmask_b32_e32 v12, v12, v13, vcc
	v_cndmask_b32_e32 v11, v11, v14, vcc
	v_add_u32_e32 v13, 1, v11
	v_cmp_le_u32_e32 vcc, s50, v12
	v_cndmask_b32_e32 v11, v11, v13, vcc
	v_mov_b32_e32 v12, 0
.LBB41_169:
	s_or_b64 exec, exec, s[4:5]
	v_add_co_u32_e32 v15, vcc, 0x600, v28
	v_addc_co_u32_e32 v16, vcc, 0, v27, vcc
	v_or_b32_e32 v14, s51, v16
	v_mov_b32_e32 v13, 0
	v_cmp_ne_u64_e32 vcc, 0, v[13:14]
                                        ; implicit-def: $vgpr13_vgpr14
	s_and_saveexec_b64 s[4:5], vcc
	s_xor_b64 s[6:7], exec, s[4:5]
	s_cbranch_execz .LBB41_171
; %bb.170:
	v_cvt_f32_u32_e32 v13, s50
	v_cvt_f32_u32_e32 v14, s51
	s_sub_u32 s8, 0, s50
	s_subb_u32 s9, 0, s51
	v_madmk_f32 v13, v14, 0x4f800000, v13
	v_rcp_f32_e32 v13, v13
	v_mul_f32_e32 v13, 0x5f7ffffc, v13
	v_mul_f32_e32 v14, 0x2f800000, v13
	v_trunc_f32_e32 v14, v14
	v_madmk_f32 v13, v14, 0xcf800000, v13
	v_cvt_u32_f32_e32 v14, v14
	v_cvt_u32_f32_e32 v13, v13
	v_readfirstlane_b32 s10, v14
	v_readfirstlane_b32 s4, v13
	s_mul_i32 s5, s8, s10
	s_mul_hi_u32 s12, s8, s4
	s_mul_i32 s11, s9, s4
	s_add_i32 s5, s12, s5
	s_mul_i32 s13, s8, s4
	s_add_i32 s5, s5, s11
	s_mul_i32 s12, s4, s5
	s_mul_hi_u32 s14, s4, s13
	s_mul_hi_u32 s11, s4, s5
	s_add_u32 s12, s14, s12
	s_addc_u32 s11, 0, s11
	s_mul_hi_u32 s15, s10, s13
	s_mul_i32 s13, s10, s13
	s_add_u32 s12, s12, s13
	s_mul_hi_u32 s14, s10, s5
	s_addc_u32 s11, s11, s15
	s_addc_u32 s12, s14, 0
	s_mul_i32 s5, s10, s5
	s_add_u32 s5, s11, s5
	s_addc_u32 s11, 0, s12
	s_add_u32 s12, s4, s5
	s_cselect_b64 s[4:5], -1, 0
	s_cmp_lg_u64 s[4:5], 0
	s_addc_u32 s10, s10, s11
	s_mul_i32 s4, s8, s10
	s_mul_hi_u32 s5, s8, s12
	s_add_i32 s4, s5, s4
	s_mul_i32 s9, s9, s12
	s_add_i32 s4, s4, s9
	s_mul_i32 s8, s8, s12
	s_mul_hi_u32 s9, s10, s8
	s_mul_i32 s11, s10, s8
	s_mul_i32 s14, s12, s4
	s_mul_hi_u32 s8, s12, s8
	s_mul_hi_u32 s13, s12, s4
	s_add_u32 s8, s8, s14
	s_addc_u32 s13, 0, s13
	s_add_u32 s8, s8, s11
	s_mul_hi_u32 s5, s10, s4
	s_addc_u32 s8, s13, s9
	s_addc_u32 s5, s5, 0
	s_mul_i32 s4, s10, s4
	s_add_u32 s4, s8, s4
	s_addc_u32 s8, 0, s5
	s_add_u32 s9, s12, s4
	s_cselect_b64 s[4:5], -1, 0
	s_cmp_lg_u64 s[4:5], 0
	s_addc_u32 s8, s10, s8
	v_mad_u64_u32 v[13:14], s[4:5], v15, s8, 0
	v_mul_hi_u32 v17, v15, s9
	v_add_co_u32_e32 v19, vcc, v17, v13
	v_addc_co_u32_e32 v20, vcc, 0, v14, vcc
	v_mad_u64_u32 v[13:14], s[4:5], v16, s9, 0
	v_mad_u64_u32 v[17:18], s[4:5], v16, s8, 0
	v_add_co_u32_e32 v13, vcc, v19, v13
	v_addc_co_u32_e32 v13, vcc, v20, v14, vcc
	v_addc_co_u32_e32 v14, vcc, 0, v18, vcc
	v_add_co_u32_e32 v17, vcc, v13, v17
	v_addc_co_u32_e32 v18, vcc, 0, v14, vcc
	v_mul_lo_u32 v19, s51, v17
	v_mul_lo_u32 v20, s50, v18
	v_mad_u64_u32 v[13:14], s[4:5], s50, v17, 0
	v_add3_u32 v14, v14, v20, v19
	v_sub_u32_e32 v19, v16, v14
	v_mov_b32_e32 v20, s51
	v_sub_co_u32_e32 v13, vcc, v15, v13
	v_subb_co_u32_e64 v15, s[4:5], v19, v20, vcc
	v_subrev_co_u32_e64 v19, s[4:5], s50, v13
	v_subbrev_co_u32_e64 v15, s[4:5], 0, v15, s[4:5]
	v_cmp_le_u32_e64 s[4:5], s51, v15
	v_cndmask_b32_e64 v20, 0, -1, s[4:5]
	v_cmp_le_u32_e64 s[4:5], s50, v19
	v_cndmask_b32_e64 v19, 0, -1, s[4:5]
	v_cmp_eq_u32_e64 s[4:5], s51, v15
	v_cndmask_b32_e64 v15, v20, v19, s[4:5]
	v_add_co_u32_e64 v19, s[4:5], 2, v17
	v_subb_co_u32_e32 v14, vcc, v16, v14, vcc
	v_addc_co_u32_e64 v20, s[4:5], 0, v18, s[4:5]
	v_cmp_le_u32_e32 vcc, s51, v14
	v_add_co_u32_e64 v21, s[4:5], 1, v17
	v_cndmask_b32_e64 v16, 0, -1, vcc
	v_cmp_le_u32_e32 vcc, s50, v13
	v_addc_co_u32_e64 v22, s[4:5], 0, v18, s[4:5]
	v_cndmask_b32_e64 v13, 0, -1, vcc
	v_cmp_eq_u32_e32 vcc, s51, v14
	v_cmp_ne_u32_e64 s[4:5], 0, v15
	v_cndmask_b32_e32 v13, v16, v13, vcc
	v_cndmask_b32_e64 v15, v22, v20, s[4:5]
	v_cmp_ne_u32_e32 vcc, 0, v13
	v_cndmask_b32_e64 v13, v21, v19, s[4:5]
	v_cndmask_b32_e32 v14, v18, v15, vcc
	v_cndmask_b32_e32 v13, v17, v13, vcc
                                        ; implicit-def: $vgpr15
.LBB41_171:
	s_andn2_saveexec_b64 s[4:5], s[6:7]
	s_cbranch_execz .LBB41_173
; %bb.172:
	v_cvt_f32_u32_e32 v13, s50
	s_sub_i32 s6, 0, s50
	v_rcp_iflag_f32_e32 v13, v13
	v_mul_f32_e32 v13, 0x4f7ffffe, v13
	v_cvt_u32_f32_e32 v13, v13
	v_mul_lo_u32 v14, s6, v13
	v_mul_hi_u32 v14, v13, v14
	v_add_u32_e32 v13, v13, v14
	v_mul_hi_u32 v13, v15, v13
	v_mul_lo_u32 v14, v13, s50
	v_add_u32_e32 v16, 1, v13
	v_sub_u32_e32 v14, v15, v14
	v_subrev_u32_e32 v15, s50, v14
	v_cmp_le_u32_e32 vcc, s50, v14
	v_cndmask_b32_e32 v14, v14, v15, vcc
	v_cndmask_b32_e32 v13, v13, v16, vcc
	v_add_u32_e32 v15, 1, v13
	v_cmp_le_u32_e32 vcc, s50, v14
	v_cndmask_b32_e32 v13, v13, v15, vcc
	v_mov_b32_e32 v14, 0
.LBB41_173:
	s_or_b64 exec, exec, s[4:5]
	v_add_co_u32_e32 v17, vcc, 0x700, v28
	v_addc_co_u32_e32 v18, vcc, 0, v27, vcc
	v_or_b32_e32 v16, s51, v18
	v_mov_b32_e32 v15, 0
	v_cmp_ne_u64_e32 vcc, 0, v[15:16]
                                        ; implicit-def: $vgpr15_vgpr16
	s_and_saveexec_b64 s[4:5], vcc
	s_xor_b64 s[6:7], exec, s[4:5]
	s_cbranch_execz .LBB41_175
; %bb.174:
	v_cvt_f32_u32_e32 v15, s50
	v_cvt_f32_u32_e32 v16, s51
	s_sub_u32 s8, 0, s50
	s_subb_u32 s9, 0, s51
	v_madmk_f32 v15, v16, 0x4f800000, v15
	v_rcp_f32_e32 v15, v15
	v_mul_f32_e32 v15, 0x5f7ffffc, v15
	v_mul_f32_e32 v16, 0x2f800000, v15
	v_trunc_f32_e32 v16, v16
	v_madmk_f32 v15, v16, 0xcf800000, v15
	v_cvt_u32_f32_e32 v16, v16
	v_cvt_u32_f32_e32 v15, v15
	v_readfirstlane_b32 s10, v16
	v_readfirstlane_b32 s4, v15
	s_mul_i32 s5, s8, s10
	s_mul_hi_u32 s12, s8, s4
	s_mul_i32 s11, s9, s4
	s_add_i32 s5, s12, s5
	s_mul_i32 s13, s8, s4
	s_add_i32 s5, s5, s11
	s_mul_i32 s12, s4, s5
	s_mul_hi_u32 s14, s4, s13
	s_mul_hi_u32 s11, s4, s5
	s_add_u32 s12, s14, s12
	s_addc_u32 s11, 0, s11
	s_mul_hi_u32 s15, s10, s13
	s_mul_i32 s13, s10, s13
	s_add_u32 s12, s12, s13
	s_mul_hi_u32 s14, s10, s5
	s_addc_u32 s11, s11, s15
	s_addc_u32 s12, s14, 0
	s_mul_i32 s5, s10, s5
	s_add_u32 s5, s11, s5
	s_addc_u32 s11, 0, s12
	s_add_u32 s12, s4, s5
	s_cselect_b64 s[4:5], -1, 0
	s_cmp_lg_u64 s[4:5], 0
	s_addc_u32 s10, s10, s11
	s_mul_i32 s4, s8, s10
	s_mul_hi_u32 s5, s8, s12
	s_add_i32 s4, s5, s4
	s_mul_i32 s9, s9, s12
	s_add_i32 s4, s4, s9
	s_mul_i32 s8, s8, s12
	s_mul_hi_u32 s9, s10, s8
	s_mul_i32 s11, s10, s8
	s_mul_i32 s14, s12, s4
	s_mul_hi_u32 s8, s12, s8
	s_mul_hi_u32 s13, s12, s4
	s_add_u32 s8, s8, s14
	s_addc_u32 s13, 0, s13
	s_add_u32 s8, s8, s11
	s_mul_hi_u32 s5, s10, s4
	s_addc_u32 s8, s13, s9
	s_addc_u32 s5, s5, 0
	s_mul_i32 s4, s10, s4
	s_add_u32 s4, s8, s4
	s_addc_u32 s8, 0, s5
	s_add_u32 s9, s12, s4
	s_cselect_b64 s[4:5], -1, 0
	s_cmp_lg_u64 s[4:5], 0
	s_addc_u32 s8, s10, s8
	v_mad_u64_u32 v[15:16], s[4:5], v17, s8, 0
	v_mul_hi_u32 v19, v17, s9
	v_add_co_u32_e32 v21, vcc, v19, v15
	v_addc_co_u32_e32 v22, vcc, 0, v16, vcc
	v_mad_u64_u32 v[15:16], s[4:5], v18, s9, 0
	v_mad_u64_u32 v[19:20], s[4:5], v18, s8, 0
	v_add_co_u32_e32 v15, vcc, v21, v15
	v_addc_co_u32_e32 v15, vcc, v22, v16, vcc
	v_addc_co_u32_e32 v16, vcc, 0, v20, vcc
	v_add_co_u32_e32 v19, vcc, v15, v19
	v_addc_co_u32_e32 v20, vcc, 0, v16, vcc
	v_mul_lo_u32 v21, s51, v19
	v_mul_lo_u32 v22, s50, v20
	v_mad_u64_u32 v[15:16], s[4:5], s50, v19, 0
	v_add3_u32 v16, v16, v22, v21
	v_sub_u32_e32 v21, v18, v16
	v_mov_b32_e32 v22, s51
	v_sub_co_u32_e32 v15, vcc, v17, v15
	v_subb_co_u32_e64 v17, s[4:5], v21, v22, vcc
	v_subrev_co_u32_e64 v21, s[4:5], s50, v15
	v_subbrev_co_u32_e64 v17, s[4:5], 0, v17, s[4:5]
	v_cmp_le_u32_e64 s[4:5], s51, v17
	v_cndmask_b32_e64 v22, 0, -1, s[4:5]
	v_cmp_le_u32_e64 s[4:5], s50, v21
	v_cndmask_b32_e64 v21, 0, -1, s[4:5]
	v_cmp_eq_u32_e64 s[4:5], s51, v17
	v_cndmask_b32_e64 v17, v22, v21, s[4:5]
	v_add_co_u32_e64 v21, s[4:5], 2, v19
	v_subb_co_u32_e32 v16, vcc, v18, v16, vcc
	v_addc_co_u32_e64 v22, s[4:5], 0, v20, s[4:5]
	v_cmp_le_u32_e32 vcc, s51, v16
	v_add_co_u32_e64 v23, s[4:5], 1, v19
	v_cndmask_b32_e64 v18, 0, -1, vcc
	v_cmp_le_u32_e32 vcc, s50, v15
	v_addc_co_u32_e64 v24, s[4:5], 0, v20, s[4:5]
	v_cndmask_b32_e64 v15, 0, -1, vcc
	v_cmp_eq_u32_e32 vcc, s51, v16
	v_cmp_ne_u32_e64 s[4:5], 0, v17
	v_cndmask_b32_e32 v15, v18, v15, vcc
	v_cndmask_b32_e64 v17, v24, v22, s[4:5]
	v_cmp_ne_u32_e32 vcc, 0, v15
	v_cndmask_b32_e64 v15, v23, v21, s[4:5]
	v_cndmask_b32_e32 v16, v20, v17, vcc
	v_cndmask_b32_e32 v15, v19, v15, vcc
                                        ; implicit-def: $vgpr17
.LBB41_175:
	s_andn2_saveexec_b64 s[4:5], s[6:7]
	s_cbranch_execz .LBB41_177
; %bb.176:
	v_cvt_f32_u32_e32 v15, s50
	s_sub_i32 s6, 0, s50
	v_rcp_iflag_f32_e32 v15, v15
	v_mul_f32_e32 v15, 0x4f7ffffe, v15
	v_cvt_u32_f32_e32 v15, v15
	v_mul_lo_u32 v16, s6, v15
	v_mul_hi_u32 v16, v15, v16
	v_add_u32_e32 v15, v15, v16
	v_mul_hi_u32 v15, v17, v15
	v_mul_lo_u32 v16, v15, s50
	v_add_u32_e32 v18, 1, v15
	v_sub_u32_e32 v16, v17, v16
	v_subrev_u32_e32 v17, s50, v16
	v_cmp_le_u32_e32 vcc, s50, v16
	v_cndmask_b32_e32 v16, v16, v17, vcc
	v_cndmask_b32_e32 v15, v15, v18, vcc
	v_add_u32_e32 v17, 1, v15
	v_cmp_le_u32_e32 vcc, s50, v16
	v_cndmask_b32_e32 v15, v15, v17, vcc
	v_mov_b32_e32 v16, 0
.LBB41_177:
	s_or_b64 exec, exec, s[4:5]
	v_add_co_u32_e32 v19, vcc, 0x800, v28
	v_addc_co_u32_e32 v20, vcc, 0, v27, vcc
	v_or_b32_e32 v18, s51, v20
	v_mov_b32_e32 v17, 0
	v_cmp_ne_u64_e32 vcc, 0, v[17:18]
                                        ; implicit-def: $vgpr17_vgpr18
	s_and_saveexec_b64 s[4:5], vcc
	s_xor_b64 s[6:7], exec, s[4:5]
	s_cbranch_execz .LBB41_179
; %bb.178:
	v_cvt_f32_u32_e32 v17, s50
	v_cvt_f32_u32_e32 v18, s51
	s_sub_u32 s8, 0, s50
	s_subb_u32 s9, 0, s51
	v_madmk_f32 v17, v18, 0x4f800000, v17
	v_rcp_f32_e32 v17, v17
	v_mul_f32_e32 v17, 0x5f7ffffc, v17
	v_mul_f32_e32 v18, 0x2f800000, v17
	v_trunc_f32_e32 v18, v18
	v_madmk_f32 v17, v18, 0xcf800000, v17
	v_cvt_u32_f32_e32 v18, v18
	v_cvt_u32_f32_e32 v17, v17
	v_readfirstlane_b32 s10, v18
	v_readfirstlane_b32 s4, v17
	s_mul_i32 s5, s8, s10
	s_mul_hi_u32 s12, s8, s4
	s_mul_i32 s11, s9, s4
	s_add_i32 s5, s12, s5
	s_mul_i32 s13, s8, s4
	s_add_i32 s5, s5, s11
	s_mul_i32 s12, s4, s5
	s_mul_hi_u32 s14, s4, s13
	s_mul_hi_u32 s11, s4, s5
	s_add_u32 s12, s14, s12
	s_addc_u32 s11, 0, s11
	s_mul_hi_u32 s15, s10, s13
	s_mul_i32 s13, s10, s13
	s_add_u32 s12, s12, s13
	s_mul_hi_u32 s14, s10, s5
	s_addc_u32 s11, s11, s15
	s_addc_u32 s12, s14, 0
	s_mul_i32 s5, s10, s5
	s_add_u32 s5, s11, s5
	s_addc_u32 s11, 0, s12
	s_add_u32 s12, s4, s5
	s_cselect_b64 s[4:5], -1, 0
	s_cmp_lg_u64 s[4:5], 0
	s_addc_u32 s10, s10, s11
	s_mul_i32 s4, s8, s10
	s_mul_hi_u32 s5, s8, s12
	s_add_i32 s4, s5, s4
	s_mul_i32 s9, s9, s12
	s_add_i32 s4, s4, s9
	s_mul_i32 s8, s8, s12
	s_mul_hi_u32 s9, s10, s8
	s_mul_i32 s11, s10, s8
	s_mul_i32 s14, s12, s4
	s_mul_hi_u32 s8, s12, s8
	s_mul_hi_u32 s13, s12, s4
	s_add_u32 s8, s8, s14
	s_addc_u32 s13, 0, s13
	s_add_u32 s8, s8, s11
	s_mul_hi_u32 s5, s10, s4
	s_addc_u32 s8, s13, s9
	s_addc_u32 s5, s5, 0
	s_mul_i32 s4, s10, s4
	s_add_u32 s4, s8, s4
	s_addc_u32 s8, 0, s5
	s_add_u32 s9, s12, s4
	s_cselect_b64 s[4:5], -1, 0
	s_cmp_lg_u64 s[4:5], 0
	s_addc_u32 s8, s10, s8
	v_mad_u64_u32 v[17:18], s[4:5], v19, s8, 0
	v_mul_hi_u32 v21, v19, s9
	v_add_co_u32_e32 v23, vcc, v21, v17
	v_addc_co_u32_e32 v24, vcc, 0, v18, vcc
	v_mad_u64_u32 v[17:18], s[4:5], v20, s9, 0
	v_mad_u64_u32 v[21:22], s[4:5], v20, s8, 0
	v_add_co_u32_e32 v17, vcc, v23, v17
	v_addc_co_u32_e32 v17, vcc, v24, v18, vcc
	v_addc_co_u32_e32 v18, vcc, 0, v22, vcc
	v_add_co_u32_e32 v21, vcc, v17, v21
	v_addc_co_u32_e32 v22, vcc, 0, v18, vcc
	v_mul_lo_u32 v23, s51, v21
	v_mul_lo_u32 v24, s50, v22
	v_mad_u64_u32 v[17:18], s[4:5], s50, v21, 0
	v_add3_u32 v18, v18, v24, v23
	v_sub_u32_e32 v23, v20, v18
	v_mov_b32_e32 v24, s51
	v_sub_co_u32_e32 v17, vcc, v19, v17
	v_subb_co_u32_e64 v19, s[4:5], v23, v24, vcc
	v_subrev_co_u32_e64 v23, s[4:5], s50, v17
	v_subbrev_co_u32_e64 v19, s[4:5], 0, v19, s[4:5]
	v_cmp_le_u32_e64 s[4:5], s51, v19
	v_cndmask_b32_e64 v24, 0, -1, s[4:5]
	v_cmp_le_u32_e64 s[4:5], s50, v23
	v_cndmask_b32_e64 v23, 0, -1, s[4:5]
	v_cmp_eq_u32_e64 s[4:5], s51, v19
	v_cndmask_b32_e64 v19, v24, v23, s[4:5]
	v_add_co_u32_e64 v23, s[4:5], 2, v21
	v_subb_co_u32_e32 v18, vcc, v20, v18, vcc
	v_addc_co_u32_e64 v24, s[4:5], 0, v22, s[4:5]
	v_cmp_le_u32_e32 vcc, s51, v18
	v_add_co_u32_e64 v25, s[4:5], 1, v21
	v_cndmask_b32_e64 v20, 0, -1, vcc
	v_cmp_le_u32_e32 vcc, s50, v17
	v_addc_co_u32_e64 v26, s[4:5], 0, v22, s[4:5]
	v_cndmask_b32_e64 v17, 0, -1, vcc
	v_cmp_eq_u32_e32 vcc, s51, v18
	v_cmp_ne_u32_e64 s[4:5], 0, v19
	v_cndmask_b32_e32 v17, v20, v17, vcc
	v_cndmask_b32_e64 v19, v26, v24, s[4:5]
	v_cmp_ne_u32_e32 vcc, 0, v17
	v_cndmask_b32_e64 v17, v25, v23, s[4:5]
	v_cndmask_b32_e32 v18, v22, v19, vcc
	v_cndmask_b32_e32 v17, v21, v17, vcc
                                        ; implicit-def: $vgpr19
.LBB41_179:
	s_andn2_saveexec_b64 s[4:5], s[6:7]
	s_cbranch_execz .LBB41_181
; %bb.180:
	v_cvt_f32_u32_e32 v17, s50
	s_sub_i32 s6, 0, s50
	v_rcp_iflag_f32_e32 v17, v17
	v_mul_f32_e32 v17, 0x4f7ffffe, v17
	v_cvt_u32_f32_e32 v17, v17
	v_mul_lo_u32 v18, s6, v17
	v_mul_hi_u32 v18, v17, v18
	v_add_u32_e32 v17, v17, v18
	v_mul_hi_u32 v17, v19, v17
	v_mul_lo_u32 v18, v17, s50
	v_add_u32_e32 v20, 1, v17
	v_sub_u32_e32 v18, v19, v18
	v_subrev_u32_e32 v19, s50, v18
	v_cmp_le_u32_e32 vcc, s50, v18
	v_cndmask_b32_e32 v18, v18, v19, vcc
	v_cndmask_b32_e32 v17, v17, v20, vcc
	v_add_u32_e32 v19, 1, v17
	v_cmp_le_u32_e32 vcc, s50, v18
	v_cndmask_b32_e32 v17, v17, v19, vcc
	v_mov_b32_e32 v18, 0
.LBB41_181:
	s_or_b64 exec, exec, s[4:5]
	v_add_co_u32_e32 v21, vcc, 0x900, v28
	v_addc_co_u32_e32 v22, vcc, 0, v27, vcc
	v_or_b32_e32 v20, s51, v22
	v_mov_b32_e32 v19, 0
	v_cmp_ne_u64_e32 vcc, 0, v[19:20]
                                        ; implicit-def: $vgpr19_vgpr20
	s_and_saveexec_b64 s[4:5], vcc
	s_xor_b64 s[6:7], exec, s[4:5]
	s_cbranch_execz .LBB41_183
; %bb.182:
	v_cvt_f32_u32_e32 v19, s50
	v_cvt_f32_u32_e32 v20, s51
	s_sub_u32 s8, 0, s50
	s_subb_u32 s9, 0, s51
	v_madmk_f32 v19, v20, 0x4f800000, v19
	v_rcp_f32_e32 v19, v19
	v_mul_f32_e32 v19, 0x5f7ffffc, v19
	v_mul_f32_e32 v20, 0x2f800000, v19
	v_trunc_f32_e32 v20, v20
	v_madmk_f32 v19, v20, 0xcf800000, v19
	v_cvt_u32_f32_e32 v20, v20
	v_cvt_u32_f32_e32 v19, v19
	v_readfirstlane_b32 s10, v20
	v_readfirstlane_b32 s4, v19
	s_mul_i32 s5, s8, s10
	s_mul_hi_u32 s12, s8, s4
	s_mul_i32 s11, s9, s4
	s_add_i32 s5, s12, s5
	s_mul_i32 s13, s8, s4
	s_add_i32 s5, s5, s11
	s_mul_i32 s12, s4, s5
	s_mul_hi_u32 s14, s4, s13
	s_mul_hi_u32 s11, s4, s5
	s_add_u32 s12, s14, s12
	s_addc_u32 s11, 0, s11
	s_mul_hi_u32 s15, s10, s13
	s_mul_i32 s13, s10, s13
	s_add_u32 s12, s12, s13
	s_mul_hi_u32 s14, s10, s5
	s_addc_u32 s11, s11, s15
	s_addc_u32 s12, s14, 0
	s_mul_i32 s5, s10, s5
	s_add_u32 s5, s11, s5
	s_addc_u32 s11, 0, s12
	s_add_u32 s12, s4, s5
	s_cselect_b64 s[4:5], -1, 0
	s_cmp_lg_u64 s[4:5], 0
	s_addc_u32 s10, s10, s11
	s_mul_i32 s4, s8, s10
	s_mul_hi_u32 s5, s8, s12
	s_add_i32 s4, s5, s4
	s_mul_i32 s9, s9, s12
	s_add_i32 s4, s4, s9
	s_mul_i32 s8, s8, s12
	s_mul_hi_u32 s9, s10, s8
	s_mul_i32 s11, s10, s8
	s_mul_i32 s14, s12, s4
	s_mul_hi_u32 s8, s12, s8
	s_mul_hi_u32 s13, s12, s4
	s_add_u32 s8, s8, s14
	s_addc_u32 s13, 0, s13
	s_add_u32 s8, s8, s11
	s_mul_hi_u32 s5, s10, s4
	s_addc_u32 s8, s13, s9
	s_addc_u32 s5, s5, 0
	s_mul_i32 s4, s10, s4
	s_add_u32 s4, s8, s4
	s_addc_u32 s8, 0, s5
	s_add_u32 s9, s12, s4
	s_cselect_b64 s[4:5], -1, 0
	s_cmp_lg_u64 s[4:5], 0
	s_addc_u32 s8, s10, s8
	v_mad_u64_u32 v[19:20], s[4:5], v21, s8, 0
	v_mul_hi_u32 v23, v21, s9
	v_add_co_u32_e32 v25, vcc, v23, v19
	v_addc_co_u32_e32 v26, vcc, 0, v20, vcc
	v_mad_u64_u32 v[19:20], s[4:5], v22, s9, 0
	v_mad_u64_u32 v[23:24], s[4:5], v22, s8, 0
	v_add_co_u32_e32 v19, vcc, v25, v19
	v_addc_co_u32_e32 v19, vcc, v26, v20, vcc
	v_addc_co_u32_e32 v20, vcc, 0, v24, vcc
	v_add_co_u32_e32 v23, vcc, v19, v23
	v_addc_co_u32_e32 v24, vcc, 0, v20, vcc
	v_mul_lo_u32 v25, s51, v23
	v_mul_lo_u32 v26, s50, v24
	v_mad_u64_u32 v[19:20], s[4:5], s50, v23, 0
	v_add3_u32 v20, v20, v26, v25
	v_sub_u32_e32 v25, v22, v20
	v_mov_b32_e32 v26, s51
	v_sub_co_u32_e32 v19, vcc, v21, v19
	v_subb_co_u32_e64 v21, s[4:5], v25, v26, vcc
	v_subrev_co_u32_e64 v25, s[4:5], s50, v19
	v_subbrev_co_u32_e64 v21, s[4:5], 0, v21, s[4:5]
	v_cmp_le_u32_e64 s[4:5], s51, v21
	v_cndmask_b32_e64 v26, 0, -1, s[4:5]
	v_cmp_le_u32_e64 s[4:5], s50, v25
	v_cndmask_b32_e64 v25, 0, -1, s[4:5]
	v_cmp_eq_u32_e64 s[4:5], s51, v21
	v_cndmask_b32_e64 v21, v26, v25, s[4:5]
	v_add_co_u32_e64 v25, s[4:5], 2, v23
	v_subb_co_u32_e32 v20, vcc, v22, v20, vcc
	v_addc_co_u32_e64 v26, s[4:5], 0, v24, s[4:5]
	v_cmp_le_u32_e32 vcc, s51, v20
	s_waitcnt lgkmcnt(0)
	v_add_co_u32_e64 v29, s[4:5], 1, v23
	v_cndmask_b32_e64 v22, 0, -1, vcc
	v_cmp_le_u32_e32 vcc, s50, v19
	v_addc_co_u32_e64 v30, s[4:5], 0, v24, s[4:5]
	v_cndmask_b32_e64 v19, 0, -1, vcc
	v_cmp_eq_u32_e32 vcc, s51, v20
	v_cmp_ne_u32_e64 s[4:5], 0, v21
	v_cndmask_b32_e32 v19, v22, v19, vcc
	v_cndmask_b32_e64 v21, v30, v26, s[4:5]
	v_cmp_ne_u32_e32 vcc, 0, v19
	v_cndmask_b32_e64 v19, v29, v25, s[4:5]
	v_cndmask_b32_e32 v20, v24, v21, vcc
	v_cndmask_b32_e32 v19, v23, v19, vcc
                                        ; implicit-def: $vgpr21
.LBB41_183:
	s_andn2_saveexec_b64 s[4:5], s[6:7]
	s_cbranch_execz .LBB41_185
; %bb.184:
	v_cvt_f32_u32_e32 v19, s50
	s_sub_i32 s6, 0, s50
	v_rcp_iflag_f32_e32 v19, v19
	v_mul_f32_e32 v19, 0x4f7ffffe, v19
	v_cvt_u32_f32_e32 v19, v19
	v_mul_lo_u32 v20, s6, v19
	v_mul_hi_u32 v20, v19, v20
	v_add_u32_e32 v19, v19, v20
	v_mul_hi_u32 v19, v21, v19
	v_mul_lo_u32 v20, v19, s50
	v_add_u32_e32 v22, 1, v19
	v_sub_u32_e32 v20, v21, v20
	v_subrev_u32_e32 v21, s50, v20
	v_cmp_le_u32_e32 vcc, s50, v20
	v_cndmask_b32_e32 v20, v20, v21, vcc
	v_cndmask_b32_e32 v19, v19, v22, vcc
	v_add_u32_e32 v21, 1, v19
	v_cmp_le_u32_e32 vcc, s50, v20
	v_cndmask_b32_e32 v19, v19, v21, vcc
	v_mov_b32_e32 v20, 0
.LBB41_185:
	s_or_b64 exec, exec, s[4:5]
	v_add_co_u32_e32 v23, vcc, 0xa00, v28
	v_addc_co_u32_e32 v24, vcc, 0, v27, vcc
	v_or_b32_e32 v22, s51, v24
	v_mov_b32_e32 v21, 0
	v_cmp_ne_u64_e32 vcc, 0, v[21:22]
                                        ; implicit-def: $vgpr21_vgpr22
	s_and_saveexec_b64 s[4:5], vcc
	s_xor_b64 s[6:7], exec, s[4:5]
	s_cbranch_execz .LBB41_187
; %bb.186:
	v_cvt_f32_u32_e32 v21, s50
	v_cvt_f32_u32_e32 v22, s51
	s_sub_u32 s8, 0, s50
	s_subb_u32 s9, 0, s51
	v_madmk_f32 v21, v22, 0x4f800000, v21
	v_rcp_f32_e32 v21, v21
	v_mul_f32_e32 v21, 0x5f7ffffc, v21
	v_mul_f32_e32 v22, 0x2f800000, v21
	v_trunc_f32_e32 v22, v22
	v_madmk_f32 v21, v22, 0xcf800000, v21
	v_cvt_u32_f32_e32 v22, v22
	v_cvt_u32_f32_e32 v21, v21
	v_readfirstlane_b32 s10, v22
	v_readfirstlane_b32 s4, v21
	s_mul_i32 s5, s8, s10
	s_mul_hi_u32 s12, s8, s4
	s_mul_i32 s11, s9, s4
	s_add_i32 s5, s12, s5
	s_mul_i32 s13, s8, s4
	s_add_i32 s5, s5, s11
	s_mul_i32 s12, s4, s5
	s_mul_hi_u32 s14, s4, s13
	s_mul_hi_u32 s11, s4, s5
	s_add_u32 s12, s14, s12
	s_addc_u32 s11, 0, s11
	s_mul_hi_u32 s15, s10, s13
	s_mul_i32 s13, s10, s13
	s_add_u32 s12, s12, s13
	s_mul_hi_u32 s14, s10, s5
	s_addc_u32 s11, s11, s15
	s_addc_u32 s12, s14, 0
	s_mul_i32 s5, s10, s5
	s_add_u32 s5, s11, s5
	s_addc_u32 s11, 0, s12
	s_add_u32 s12, s4, s5
	s_cselect_b64 s[4:5], -1, 0
	s_cmp_lg_u64 s[4:5], 0
	s_addc_u32 s10, s10, s11
	s_mul_i32 s4, s8, s10
	s_mul_hi_u32 s5, s8, s12
	s_add_i32 s4, s5, s4
	s_mul_i32 s9, s9, s12
	s_add_i32 s4, s4, s9
	s_mul_i32 s8, s8, s12
	s_mul_hi_u32 s9, s10, s8
	s_mul_i32 s11, s10, s8
	s_mul_i32 s14, s12, s4
	s_mul_hi_u32 s8, s12, s8
	s_mul_hi_u32 s13, s12, s4
	s_add_u32 s8, s8, s14
	s_addc_u32 s13, 0, s13
	s_add_u32 s8, s8, s11
	s_mul_hi_u32 s5, s10, s4
	s_addc_u32 s8, s13, s9
	s_addc_u32 s5, s5, 0
	s_mul_i32 s4, s10, s4
	s_add_u32 s4, s8, s4
	s_addc_u32 s8, 0, s5
	s_add_u32 s9, s12, s4
	s_cselect_b64 s[4:5], -1, 0
	s_cmp_lg_u64 s[4:5], 0
	s_addc_u32 s8, s10, s8
	v_mad_u64_u32 v[21:22], s[4:5], v23, s8, 0
	v_mul_hi_u32 v25, v23, s9
	s_waitcnt lgkmcnt(0)
	v_add_co_u32_e32 v29, vcc, v25, v21
	v_addc_co_u32_e32 v30, vcc, 0, v22, vcc
	v_mad_u64_u32 v[21:22], s[4:5], v24, s9, 0
	v_mad_u64_u32 v[25:26], s[4:5], v24, s8, 0
	v_add_co_u32_e32 v21, vcc, v29, v21
	v_addc_co_u32_e32 v21, vcc, v30, v22, vcc
	v_addc_co_u32_e32 v22, vcc, 0, v26, vcc
	v_add_co_u32_e32 v25, vcc, v21, v25
	v_addc_co_u32_e32 v26, vcc, 0, v22, vcc
	v_mul_lo_u32 v29, s51, v25
	v_mul_lo_u32 v30, s50, v26
	v_mad_u64_u32 v[21:22], s[4:5], s50, v25, 0
	v_add3_u32 v22, v22, v30, v29
	v_sub_u32_e32 v29, v24, v22
	v_mov_b32_e32 v30, s51
	v_sub_co_u32_e32 v21, vcc, v23, v21
	v_subb_co_u32_e64 v23, s[4:5], v29, v30, vcc
	v_subrev_co_u32_e64 v29, s[4:5], s50, v21
	v_subbrev_co_u32_e64 v23, s[4:5], 0, v23, s[4:5]
	v_cmp_le_u32_e64 s[4:5], s51, v23
	v_cndmask_b32_e64 v30, 0, -1, s[4:5]
	v_cmp_le_u32_e64 s[4:5], s50, v29
	v_cndmask_b32_e64 v29, 0, -1, s[4:5]
	v_cmp_eq_u32_e64 s[4:5], s51, v23
	v_cndmask_b32_e64 v23, v30, v29, s[4:5]
	v_add_co_u32_e64 v29, s[4:5], 2, v25
	v_subb_co_u32_e32 v22, vcc, v24, v22, vcc
	v_addc_co_u32_e64 v30, s[4:5], 0, v26, s[4:5]
	v_cmp_le_u32_e32 vcc, s51, v22
	v_add_co_u32_e64 v31, s[4:5], 1, v25
	v_cndmask_b32_e64 v24, 0, -1, vcc
	v_cmp_le_u32_e32 vcc, s50, v21
	v_addc_co_u32_e64 v32, s[4:5], 0, v26, s[4:5]
	v_cndmask_b32_e64 v21, 0, -1, vcc
	v_cmp_eq_u32_e32 vcc, s51, v22
	v_cmp_ne_u32_e64 s[4:5], 0, v23
	v_cndmask_b32_e32 v21, v24, v21, vcc
	v_cndmask_b32_e64 v23, v32, v30, s[4:5]
	v_cmp_ne_u32_e32 vcc, 0, v21
	v_cndmask_b32_e64 v21, v31, v29, s[4:5]
	v_cndmask_b32_e32 v22, v26, v23, vcc
	v_cndmask_b32_e32 v21, v25, v21, vcc
                                        ; implicit-def: $vgpr23
.LBB41_187:
	s_andn2_saveexec_b64 s[4:5], s[6:7]
	s_cbranch_execz .LBB41_189
; %bb.188:
	v_cvt_f32_u32_e32 v21, s50
	s_sub_i32 s6, 0, s50
	v_rcp_iflag_f32_e32 v21, v21
	v_mul_f32_e32 v21, 0x4f7ffffe, v21
	v_cvt_u32_f32_e32 v21, v21
	v_mul_lo_u32 v22, s6, v21
	v_mul_hi_u32 v22, v21, v22
	v_add_u32_e32 v21, v21, v22
	v_mul_hi_u32 v21, v23, v21
	v_mul_lo_u32 v22, v21, s50
	v_add_u32_e32 v24, 1, v21
	v_sub_u32_e32 v22, v23, v22
	v_subrev_u32_e32 v23, s50, v22
	v_cmp_le_u32_e32 vcc, s50, v22
	v_cndmask_b32_e32 v22, v22, v23, vcc
	v_cndmask_b32_e32 v21, v21, v24, vcc
	v_add_u32_e32 v23, 1, v21
	v_cmp_le_u32_e32 vcc, s50, v22
	v_cndmask_b32_e32 v21, v21, v23, vcc
	v_mov_b32_e32 v22, 0
.LBB41_189:
	s_or_b64 exec, exec, s[4:5]
	v_add_co_u32_e32 v25, vcc, 0xb00, v28
	v_addc_co_u32_e32 v26, vcc, 0, v27, vcc
	v_or_b32_e32 v24, s51, v26
	v_mov_b32_e32 v23, 0
	v_cmp_ne_u64_e32 vcc, 0, v[23:24]
                                        ; implicit-def: $vgpr23_vgpr24
	s_and_saveexec_b64 s[4:5], vcc
	s_xor_b64 s[6:7], exec, s[4:5]
	s_cbranch_execz .LBB41_191
; %bb.190:
	v_cvt_f32_u32_e32 v23, s50
	v_cvt_f32_u32_e32 v24, s51
	s_sub_u32 s8, 0, s50
	s_subb_u32 s9, 0, s51
	v_madmk_f32 v23, v24, 0x4f800000, v23
	v_rcp_f32_e32 v23, v23
	v_mul_f32_e32 v23, 0x5f7ffffc, v23
	v_mul_f32_e32 v24, 0x2f800000, v23
	v_trunc_f32_e32 v24, v24
	v_madmk_f32 v23, v24, 0xcf800000, v23
	v_cvt_u32_f32_e32 v24, v24
	v_cvt_u32_f32_e32 v23, v23
	v_readfirstlane_b32 s10, v24
	v_readfirstlane_b32 s4, v23
	s_mul_i32 s5, s8, s10
	s_mul_hi_u32 s12, s8, s4
	s_mul_i32 s11, s9, s4
	s_add_i32 s5, s12, s5
	s_mul_i32 s13, s8, s4
	s_add_i32 s5, s5, s11
	s_mul_i32 s12, s4, s5
	s_mul_hi_u32 s14, s4, s13
	s_mul_hi_u32 s11, s4, s5
	s_add_u32 s12, s14, s12
	s_addc_u32 s11, 0, s11
	s_mul_hi_u32 s15, s10, s13
	s_mul_i32 s13, s10, s13
	s_add_u32 s12, s12, s13
	s_mul_hi_u32 s14, s10, s5
	s_addc_u32 s11, s11, s15
	s_addc_u32 s12, s14, 0
	s_mul_i32 s5, s10, s5
	s_add_u32 s5, s11, s5
	s_addc_u32 s11, 0, s12
	s_add_u32 s12, s4, s5
	s_cselect_b64 s[4:5], -1, 0
	s_cmp_lg_u64 s[4:5], 0
	s_addc_u32 s10, s10, s11
	s_mul_i32 s4, s8, s10
	s_mul_hi_u32 s5, s8, s12
	s_add_i32 s4, s5, s4
	s_mul_i32 s9, s9, s12
	s_add_i32 s4, s4, s9
	s_mul_i32 s8, s8, s12
	s_mul_hi_u32 s9, s10, s8
	s_mul_i32 s11, s10, s8
	s_mul_i32 s14, s12, s4
	s_mul_hi_u32 s8, s12, s8
	s_mul_hi_u32 s13, s12, s4
	s_add_u32 s8, s8, s14
	s_addc_u32 s13, 0, s13
	s_add_u32 s8, s8, s11
	s_mul_hi_u32 s5, s10, s4
	s_addc_u32 s8, s13, s9
	s_addc_u32 s5, s5, 0
	s_mul_i32 s4, s10, s4
	s_add_u32 s4, s8, s4
	s_addc_u32 s8, 0, s5
	s_add_u32 s9, s12, s4
	s_cselect_b64 s[4:5], -1, 0
	s_cmp_lg_u64 s[4:5], 0
	s_addc_u32 s8, s10, s8
	v_mad_u64_u32 v[23:24], s[4:5], v25, s8, 0
	s_waitcnt lgkmcnt(0)
	v_mul_hi_u32 v29, v25, s9
	v_add_co_u32_e32 v31, vcc, v29, v23
	v_addc_co_u32_e32 v32, vcc, 0, v24, vcc
	v_mad_u64_u32 v[23:24], s[4:5], v26, s9, 0
	v_mad_u64_u32 v[29:30], s[4:5], v26, s8, 0
	v_add_co_u32_e32 v23, vcc, v31, v23
	v_addc_co_u32_e32 v23, vcc, v32, v24, vcc
	v_addc_co_u32_e32 v24, vcc, 0, v30, vcc
	v_add_co_u32_e32 v29, vcc, v23, v29
	v_addc_co_u32_e32 v30, vcc, 0, v24, vcc
	v_mul_lo_u32 v31, s51, v29
	v_mul_lo_u32 v32, s50, v30
	v_mad_u64_u32 v[23:24], s[4:5], s50, v29, 0
	v_add3_u32 v24, v24, v32, v31
	v_sub_u32_e32 v31, v26, v24
	v_mov_b32_e32 v32, s51
	v_sub_co_u32_e32 v23, vcc, v25, v23
	v_subb_co_u32_e64 v25, s[4:5], v31, v32, vcc
	v_subrev_co_u32_e64 v31, s[4:5], s50, v23
	v_subbrev_co_u32_e64 v25, s[4:5], 0, v25, s[4:5]
	v_cmp_le_u32_e64 s[4:5], s51, v25
	v_cndmask_b32_e64 v32, 0, -1, s[4:5]
	v_cmp_le_u32_e64 s[4:5], s50, v31
	v_cndmask_b32_e64 v31, 0, -1, s[4:5]
	v_cmp_eq_u32_e64 s[4:5], s51, v25
	v_cndmask_b32_e64 v25, v32, v31, s[4:5]
	v_add_co_u32_e64 v31, s[4:5], 2, v29
	v_subb_co_u32_e32 v24, vcc, v26, v24, vcc
	v_addc_co_u32_e64 v32, s[4:5], 0, v30, s[4:5]
	v_cmp_le_u32_e32 vcc, s51, v24
	v_add_co_u32_e64 v33, s[4:5], 1, v29
	v_cndmask_b32_e64 v26, 0, -1, vcc
	v_cmp_le_u32_e32 vcc, s50, v23
	v_addc_co_u32_e64 v34, s[4:5], 0, v30, s[4:5]
	v_cndmask_b32_e64 v23, 0, -1, vcc
	v_cmp_eq_u32_e32 vcc, s51, v24
	v_cmp_ne_u32_e64 s[4:5], 0, v25
	v_cndmask_b32_e32 v23, v26, v23, vcc
	v_cndmask_b32_e64 v25, v34, v32, s[4:5]
	v_cmp_ne_u32_e32 vcc, 0, v23
	v_cndmask_b32_e64 v23, v33, v31, s[4:5]
	v_cndmask_b32_e32 v24, v30, v25, vcc
	v_cndmask_b32_e32 v23, v29, v23, vcc
                                        ; implicit-def: $vgpr25
.LBB41_191:
	s_andn2_saveexec_b64 s[4:5], s[6:7]
	s_cbranch_execz .LBB41_193
; %bb.192:
	v_cvt_f32_u32_e32 v23, s50
	s_sub_i32 s6, 0, s50
	v_rcp_iflag_f32_e32 v23, v23
	v_mul_f32_e32 v23, 0x4f7ffffe, v23
	v_cvt_u32_f32_e32 v23, v23
	v_mul_lo_u32 v24, s6, v23
	v_mul_hi_u32 v24, v23, v24
	v_add_u32_e32 v23, v23, v24
	v_mul_hi_u32 v23, v25, v23
	v_mul_lo_u32 v24, v23, s50
	v_add_u32_e32 v26, 1, v23
	v_sub_u32_e32 v24, v25, v24
	v_subrev_u32_e32 v25, s50, v24
	v_cmp_le_u32_e32 vcc, s50, v24
	v_cndmask_b32_e32 v24, v24, v25, vcc
	v_cndmask_b32_e32 v23, v23, v26, vcc
	v_add_u32_e32 v25, 1, v23
	v_cmp_le_u32_e32 vcc, s50, v24
	v_cndmask_b32_e32 v23, v23, v25, vcc
	v_mov_b32_e32 v24, 0
.LBB41_193:
	s_or_b64 exec, exec, s[4:5]
	s_waitcnt lgkmcnt(0)
	v_add_co_u32_e32 v29, vcc, 0xc00, v28
	v_addc_co_u32_e32 v30, vcc, 0, v27, vcc
	v_or_b32_e32 v26, s51, v30
	v_mov_b32_e32 v25, 0
	v_cmp_ne_u64_e32 vcc, 0, v[25:26]
                                        ; implicit-def: $vgpr25_vgpr26
	s_and_saveexec_b64 s[4:5], vcc
	s_xor_b64 s[6:7], exec, s[4:5]
	s_cbranch_execz .LBB41_195
; %bb.194:
	v_cvt_f32_u32_e32 v25, s50
	v_cvt_f32_u32_e32 v26, s51
	s_sub_u32 s8, 0, s50
	s_subb_u32 s9, 0, s51
	v_madmk_f32 v25, v26, 0x4f800000, v25
	v_rcp_f32_e32 v25, v25
	v_mul_f32_e32 v25, 0x5f7ffffc, v25
	v_mul_f32_e32 v26, 0x2f800000, v25
	v_trunc_f32_e32 v26, v26
	v_madmk_f32 v25, v26, 0xcf800000, v25
	v_cvt_u32_f32_e32 v26, v26
	v_cvt_u32_f32_e32 v25, v25
	v_readfirstlane_b32 s10, v26
	v_readfirstlane_b32 s4, v25
	s_mul_i32 s5, s8, s10
	s_mul_hi_u32 s12, s8, s4
	s_mul_i32 s11, s9, s4
	s_add_i32 s5, s12, s5
	s_mul_i32 s13, s8, s4
	s_add_i32 s5, s5, s11
	s_mul_i32 s12, s4, s5
	s_mul_hi_u32 s14, s4, s13
	s_mul_hi_u32 s11, s4, s5
	s_add_u32 s12, s14, s12
	s_addc_u32 s11, 0, s11
	s_mul_hi_u32 s15, s10, s13
	s_mul_i32 s13, s10, s13
	s_add_u32 s12, s12, s13
	s_mul_hi_u32 s14, s10, s5
	s_addc_u32 s11, s11, s15
	s_addc_u32 s12, s14, 0
	s_mul_i32 s5, s10, s5
	s_add_u32 s5, s11, s5
	s_addc_u32 s11, 0, s12
	s_add_u32 s12, s4, s5
	s_cselect_b64 s[4:5], -1, 0
	s_cmp_lg_u64 s[4:5], 0
	s_addc_u32 s10, s10, s11
	s_mul_i32 s4, s8, s10
	s_mul_hi_u32 s5, s8, s12
	s_add_i32 s4, s5, s4
	s_mul_i32 s9, s9, s12
	s_add_i32 s4, s4, s9
	s_mul_i32 s8, s8, s12
	s_mul_hi_u32 s9, s10, s8
	s_mul_i32 s11, s10, s8
	s_mul_i32 s14, s12, s4
	s_mul_hi_u32 s8, s12, s8
	s_mul_hi_u32 s13, s12, s4
	s_add_u32 s8, s8, s14
	s_addc_u32 s13, 0, s13
	s_add_u32 s8, s8, s11
	s_mul_hi_u32 s5, s10, s4
	s_addc_u32 s8, s13, s9
	s_addc_u32 s5, s5, 0
	s_mul_i32 s4, s10, s4
	s_add_u32 s4, s8, s4
	s_addc_u32 s8, 0, s5
	s_add_u32 s9, s12, s4
	s_cselect_b64 s[4:5], -1, 0
	s_cmp_lg_u64 s[4:5], 0
	s_addc_u32 s8, s10, s8
	v_mad_u64_u32 v[25:26], s[4:5], v29, s8, 0
	v_mul_hi_u32 v31, v29, s9
	v_add_co_u32_e32 v33, vcc, v31, v25
	v_addc_co_u32_e32 v34, vcc, 0, v26, vcc
	v_mad_u64_u32 v[25:26], s[4:5], v30, s9, 0
	v_mad_u64_u32 v[31:32], s[4:5], v30, s8, 0
	v_add_co_u32_e32 v25, vcc, v33, v25
	v_addc_co_u32_e32 v25, vcc, v34, v26, vcc
	v_addc_co_u32_e32 v26, vcc, 0, v32, vcc
	v_add_co_u32_e32 v31, vcc, v25, v31
	v_addc_co_u32_e32 v32, vcc, 0, v26, vcc
	v_mul_lo_u32 v33, s51, v31
	v_mul_lo_u32 v34, s50, v32
	v_mad_u64_u32 v[25:26], s[4:5], s50, v31, 0
	v_add3_u32 v26, v26, v34, v33
	v_sub_u32_e32 v33, v30, v26
	v_mov_b32_e32 v34, s51
	v_sub_co_u32_e32 v25, vcc, v29, v25
	v_subb_co_u32_e64 v29, s[4:5], v33, v34, vcc
	v_subrev_co_u32_e64 v33, s[4:5], s50, v25
	v_subbrev_co_u32_e64 v29, s[4:5], 0, v29, s[4:5]
	v_cmp_le_u32_e64 s[4:5], s51, v29
	v_cndmask_b32_e64 v34, 0, -1, s[4:5]
	v_cmp_le_u32_e64 s[4:5], s50, v33
	v_cndmask_b32_e64 v33, 0, -1, s[4:5]
	v_cmp_eq_u32_e64 s[4:5], s51, v29
	v_cndmask_b32_e64 v29, v34, v33, s[4:5]
	v_add_co_u32_e64 v33, s[4:5], 2, v31
	v_subb_co_u32_e32 v26, vcc, v30, v26, vcc
	v_addc_co_u32_e64 v34, s[4:5], 0, v32, s[4:5]
	v_cmp_le_u32_e32 vcc, s51, v26
	v_add_co_u32_e64 v35, s[4:5], 1, v31
	v_cndmask_b32_e64 v30, 0, -1, vcc
	v_cmp_le_u32_e32 vcc, s50, v25
	v_addc_co_u32_e64 v36, s[4:5], 0, v32, s[4:5]
	v_cndmask_b32_e64 v25, 0, -1, vcc
	v_cmp_eq_u32_e32 vcc, s51, v26
	v_cmp_ne_u32_e64 s[4:5], 0, v29
	v_cndmask_b32_e32 v25, v30, v25, vcc
	v_cndmask_b32_e64 v29, v36, v34, s[4:5]
	v_cmp_ne_u32_e32 vcc, 0, v25
	v_cndmask_b32_e64 v25, v35, v33, s[4:5]
	v_cndmask_b32_e32 v26, v32, v29, vcc
	v_cndmask_b32_e32 v25, v31, v25, vcc
                                        ; implicit-def: $vgpr29
.LBB41_195:
	s_andn2_saveexec_b64 s[4:5], s[6:7]
	s_cbranch_execz .LBB41_197
; %bb.196:
	v_cvt_f32_u32_e32 v25, s50
	s_sub_i32 s6, 0, s50
	v_rcp_iflag_f32_e32 v25, v25
	v_mul_f32_e32 v25, 0x4f7ffffe, v25
	v_cvt_u32_f32_e32 v25, v25
	v_mul_lo_u32 v26, s6, v25
	v_mul_hi_u32 v26, v25, v26
	v_add_u32_e32 v25, v25, v26
	v_mul_hi_u32 v25, v29, v25
	v_mul_lo_u32 v26, v25, s50
	v_add_u32_e32 v30, 1, v25
	v_sub_u32_e32 v26, v29, v26
	v_subrev_u32_e32 v29, s50, v26
	v_cmp_le_u32_e32 vcc, s50, v26
	v_cndmask_b32_e32 v26, v26, v29, vcc
	v_cndmask_b32_e32 v25, v25, v30, vcc
	v_add_u32_e32 v29, 1, v25
	v_cmp_le_u32_e32 vcc, s50, v26
	v_cndmask_b32_e32 v25, v25, v29, vcc
	v_mov_b32_e32 v26, 0
.LBB41_197:
	s_or_b64 exec, exec, s[4:5]
	v_add_co_u32_e32 v29, vcc, 0xd00, v28
	v_addc_co_u32_e32 v30, vcc, 0, v27, vcc
	v_or_b32_e32 v28, s51, v30
	v_mov_b32_e32 v27, 0
	v_cmp_ne_u64_e32 vcc, 0, v[27:28]
                                        ; implicit-def: $vgpr27_vgpr28
	s_and_saveexec_b64 s[4:5], vcc
	s_xor_b64 s[6:7], exec, s[4:5]
	s_cbranch_execz .LBB41_199
; %bb.198:
	v_cvt_f32_u32_e32 v27, s50
	v_cvt_f32_u32_e32 v28, s51
	s_sub_u32 s8, 0, s50
	s_subb_u32 s9, 0, s51
	v_madmk_f32 v27, v28, 0x4f800000, v27
	v_rcp_f32_e32 v27, v27
	v_mul_f32_e32 v27, 0x5f7ffffc, v27
	v_mul_f32_e32 v28, 0x2f800000, v27
	v_trunc_f32_e32 v28, v28
	v_madmk_f32 v27, v28, 0xcf800000, v27
	v_cvt_u32_f32_e32 v28, v28
	v_cvt_u32_f32_e32 v27, v27
	v_readfirstlane_b32 s10, v28
	v_readfirstlane_b32 s4, v27
	s_mul_i32 s5, s8, s10
	s_mul_hi_u32 s12, s8, s4
	s_mul_i32 s11, s9, s4
	s_add_i32 s5, s12, s5
	s_mul_i32 s13, s8, s4
	s_add_i32 s5, s5, s11
	s_mul_i32 s12, s4, s5
	s_mul_hi_u32 s14, s4, s13
	s_mul_hi_u32 s11, s4, s5
	s_add_u32 s12, s14, s12
	s_addc_u32 s11, 0, s11
	s_mul_hi_u32 s15, s10, s13
	s_mul_i32 s13, s10, s13
	s_add_u32 s12, s12, s13
	s_mul_hi_u32 s14, s10, s5
	s_addc_u32 s11, s11, s15
	s_addc_u32 s12, s14, 0
	s_mul_i32 s5, s10, s5
	s_add_u32 s5, s11, s5
	s_addc_u32 s11, 0, s12
	s_add_u32 s12, s4, s5
	s_cselect_b64 s[4:5], -1, 0
	s_cmp_lg_u64 s[4:5], 0
	s_addc_u32 s10, s10, s11
	s_mul_i32 s4, s8, s10
	s_mul_hi_u32 s5, s8, s12
	s_add_i32 s4, s5, s4
	s_mul_i32 s9, s9, s12
	s_add_i32 s4, s4, s9
	s_mul_i32 s8, s8, s12
	s_mul_hi_u32 s9, s10, s8
	s_mul_i32 s11, s10, s8
	s_mul_i32 s14, s12, s4
	s_mul_hi_u32 s8, s12, s8
	s_mul_hi_u32 s13, s12, s4
	s_add_u32 s8, s8, s14
	s_addc_u32 s13, 0, s13
	s_add_u32 s8, s8, s11
	s_mul_hi_u32 s5, s10, s4
	s_addc_u32 s8, s13, s9
	s_addc_u32 s5, s5, 0
	s_mul_i32 s4, s10, s4
	s_add_u32 s4, s8, s4
	s_addc_u32 s8, 0, s5
	s_add_u32 s9, s12, s4
	s_cselect_b64 s[4:5], -1, 0
	s_cmp_lg_u64 s[4:5], 0
	s_addc_u32 s8, s10, s8
	v_mad_u64_u32 v[27:28], s[4:5], v29, s8, 0
	v_mul_hi_u32 v31, v29, s9
	v_add_co_u32_e32 v33, vcc, v31, v27
	v_addc_co_u32_e32 v34, vcc, 0, v28, vcc
	v_mad_u64_u32 v[27:28], s[4:5], v30, s9, 0
	v_mad_u64_u32 v[31:32], s[4:5], v30, s8, 0
	v_add_co_u32_e32 v27, vcc, v33, v27
	v_addc_co_u32_e32 v27, vcc, v34, v28, vcc
	v_addc_co_u32_e32 v28, vcc, 0, v32, vcc
	v_add_co_u32_e32 v31, vcc, v27, v31
	v_addc_co_u32_e32 v32, vcc, 0, v28, vcc
	v_mul_lo_u32 v33, s51, v31
	v_mul_lo_u32 v34, s50, v32
	v_mad_u64_u32 v[27:28], s[4:5], s50, v31, 0
	v_add3_u32 v28, v28, v34, v33
	v_sub_u32_e32 v33, v30, v28
	v_mov_b32_e32 v34, s51
	v_sub_co_u32_e32 v27, vcc, v29, v27
	v_subb_co_u32_e64 v29, s[4:5], v33, v34, vcc
	v_subrev_co_u32_e64 v33, s[4:5], s50, v27
	v_subbrev_co_u32_e64 v29, s[4:5], 0, v29, s[4:5]
	v_cmp_le_u32_e64 s[4:5], s51, v29
	v_cndmask_b32_e64 v34, 0, -1, s[4:5]
	v_cmp_le_u32_e64 s[4:5], s50, v33
	v_cndmask_b32_e64 v33, 0, -1, s[4:5]
	v_cmp_eq_u32_e64 s[4:5], s51, v29
	v_cndmask_b32_e64 v29, v34, v33, s[4:5]
	v_add_co_u32_e64 v33, s[4:5], 2, v31
	v_subb_co_u32_e32 v28, vcc, v30, v28, vcc
	v_addc_co_u32_e64 v34, s[4:5], 0, v32, s[4:5]
	v_cmp_le_u32_e32 vcc, s51, v28
	v_add_co_u32_e64 v35, s[4:5], 1, v31
	v_cndmask_b32_e64 v30, 0, -1, vcc
	v_cmp_le_u32_e32 vcc, s50, v27
	v_addc_co_u32_e64 v36, s[4:5], 0, v32, s[4:5]
	v_cndmask_b32_e64 v27, 0, -1, vcc
	v_cmp_eq_u32_e32 vcc, s51, v28
	v_cmp_ne_u32_e64 s[4:5], 0, v29
	v_cndmask_b32_e32 v27, v30, v27, vcc
	v_cndmask_b32_e64 v29, v36, v34, s[4:5]
	v_cmp_ne_u32_e32 vcc, 0, v27
	v_cndmask_b32_e64 v27, v35, v33, s[4:5]
	v_cndmask_b32_e32 v28, v32, v29, vcc
	v_cndmask_b32_e32 v27, v31, v27, vcc
                                        ; implicit-def: $vgpr29
.LBB41_199:
	s_andn2_saveexec_b64 s[4:5], s[6:7]
	s_cbranch_execz .LBB41_201
; %bb.200:
	v_cvt_f32_u32_e32 v27, s50
	s_sub_i32 s6, 0, s50
	v_rcp_iflag_f32_e32 v27, v27
	v_mul_f32_e32 v27, 0x4f7ffffe, v27
	v_cvt_u32_f32_e32 v27, v27
	v_mul_lo_u32 v28, s6, v27
	v_mul_hi_u32 v28, v27, v28
	v_add_u32_e32 v27, v27, v28
	v_mul_hi_u32 v27, v29, v27
	v_mul_lo_u32 v28, v27, s50
	v_add_u32_e32 v30, 1, v27
	v_sub_u32_e32 v28, v29, v28
	v_subrev_u32_e32 v29, s50, v28
	v_cmp_le_u32_e32 vcc, s50, v28
	v_cndmask_b32_e32 v28, v28, v29, vcc
	v_cndmask_b32_e32 v27, v27, v30, vcc
	v_add_u32_e32 v29, 1, v27
	v_cmp_le_u32_e32 vcc, s50, v28
	v_cndmask_b32_e32 v27, v27, v29, vcc
	v_mov_b32_e32 v28, 0
.LBB41_201:
	s_or_b64 exec, exec, s[4:5]
	v_lshlrev_b32_e32 v29, 3, v0
	s_movk_i32 s4, 0x68
	ds_write2st64_b64 v29, v[1:2], v[3:4] offset1:4
	ds_write2st64_b64 v29, v[5:6], v[7:8] offset0:8 offset1:12
	ds_write2st64_b64 v29, v[9:10], v[11:12] offset0:16 offset1:20
	;; [unrolled: 1-line block ×6, first 2 shown]
	v_mad_u32_u24 v29, v0, s4, v29
	s_waitcnt lgkmcnt(0)
	s_barrier
	ds_read_b128 v[25:28], v29
	ds_read_b128 v[21:24], v29 offset:16
	ds_read_b128 v[17:20], v29 offset:32
	;; [unrolled: 1-line block ×6, first 2 shown]
	s_cmp_eq_u64 s[62:63], 0
	s_cbranch_scc1 .LBB41_217
; %bb.202:
	s_andn2_b64 vcc, exec, s[54:55]
	s_cbranch_vccnz .LBB41_218
; %bb.203:
	s_lshl_b64 s[4:5], s[62:63], 3
	s_add_u32 s4, s46, s4
	s_addc_u32 s5, s47, s5
	s_add_u32 s4, s4, -8
	s_addc_u32 s5, s5, -1
	s_load_dwordx2 s[8:9], s[4:5], 0x0
	s_cbranch_execz .LBB41_219
	s_branch .LBB41_222
.LBB41_204:
	v_lshlrev_b32_e32 v40, 2, v0
	v_mov_b32_e32 v41, s69
	v_add_co_u32_e32 v40, vcc, s68, v40
	v_addc_co_u32_e32 v41, vcc, 0, v41, vcc
	flat_load_dword v40, v[40:41]
	s_or_b64 exec, exec, s[4:5]
                                        ; implicit-def: $vgpr41
	s_and_saveexec_b64 s[4:5], s[8:9]
	s_cbranch_execz .LBB41_105
.LBB41_205:
	v_lshlrev_b32_e32 v41, 2, v0
	v_mov_b32_e32 v42, s69
	v_add_co_u32_e32 v41, vcc, s68, v41
	v_addc_co_u32_e32 v42, vcc, 0, v42, vcc
	flat_load_dword v41, v[41:42] offset:1024
	s_or_b64 exec, exec, s[4:5]
                                        ; implicit-def: $vgpr42
	s_and_saveexec_b64 s[4:5], s[10:11]
	s_cbranch_execz .LBB41_106
.LBB41_206:
	v_lshlrev_b32_e32 v42, 2, v0
	v_mov_b32_e32 v43, s69
	v_add_co_u32_e32 v42, vcc, s68, v42
	v_addc_co_u32_e32 v43, vcc, 0, v43, vcc
	flat_load_dword v42, v[42:43] offset:2048
	s_or_b64 exec, exec, s[4:5]
                                        ; implicit-def: $vgpr43
	s_and_saveexec_b64 s[4:5], s[12:13]
	s_cbranch_execz .LBB41_107
.LBB41_207:
	v_lshlrev_b32_e32 v43, 2, v0
	v_mov_b32_e32 v44, s69
	v_add_co_u32_e32 v43, vcc, s68, v43
	v_addc_co_u32_e32 v44, vcc, 0, v44, vcc
	flat_load_dword v43, v[43:44] offset:3072
	s_or_b64 exec, exec, s[4:5]
                                        ; implicit-def: $vgpr44
	s_and_saveexec_b64 s[4:5], s[14:15]
	s_cbranch_execz .LBB41_108
.LBB41_208:
	v_lshlrev_b32_e32 v29, 2, v29
	v_mov_b32_e32 v45, s69
	v_add_co_u32_e32 v44, vcc, s68, v29
	v_addc_co_u32_e32 v45, vcc, 0, v45, vcc
	flat_load_dword v44, v[44:45]
	s_or_b64 exec, exec, s[4:5]
                                        ; implicit-def: $vgpr29
	s_and_saveexec_b64 s[4:5], s[16:17]
	s_cbranch_execz .LBB41_109
.LBB41_209:
	v_lshlrev_b32_e32 v29, 2, v30
	v_mov_b32_e32 v30, s69
	v_add_co_u32_e32 v29, vcc, s68, v29
	v_addc_co_u32_e32 v30, vcc, 0, v30, vcc
	flat_load_dword v29, v[29:30]
	s_or_b64 exec, exec, s[4:5]
                                        ; implicit-def: $vgpr30
	s_and_saveexec_b64 s[4:5], s[18:19]
	s_cbranch_execz .LBB41_110
.LBB41_210:
	v_lshlrev_b32_e32 v30, 2, v31
	v_mov_b32_e32 v31, s69
	v_add_co_u32_e32 v30, vcc, s68, v30
	v_addc_co_u32_e32 v31, vcc, 0, v31, vcc
	flat_load_dword v30, v[30:31]
	s_or_b64 exec, exec, s[4:5]
                                        ; implicit-def: $vgpr31
	s_and_saveexec_b64 s[4:5], s[20:21]
	s_cbranch_execz .LBB41_111
.LBB41_211:
	v_lshlrev_b32_e32 v31, 2, v32
	v_mov_b32_e32 v32, s69
	v_add_co_u32_e32 v31, vcc, s68, v31
	v_addc_co_u32_e32 v32, vcc, 0, v32, vcc
	flat_load_dword v31, v[31:32]
	s_or_b64 exec, exec, s[4:5]
                                        ; implicit-def: $vgpr32
	s_and_saveexec_b64 s[4:5], s[22:23]
	s_cbranch_execz .LBB41_112
.LBB41_212:
	v_lshlrev_b32_e32 v32, 2, v33
	v_mov_b32_e32 v33, s69
	v_add_co_u32_e32 v32, vcc, s68, v32
	v_addc_co_u32_e32 v33, vcc, 0, v33, vcc
	flat_load_dword v32, v[32:33]
	s_or_b64 exec, exec, s[4:5]
                                        ; implicit-def: $vgpr33
	s_and_saveexec_b64 s[4:5], s[24:25]
	s_cbranch_execz .LBB41_113
.LBB41_213:
	v_lshlrev_b32_e32 v33, 2, v34
	v_mov_b32_e32 v34, s69
	v_add_co_u32_e32 v33, vcc, s68, v33
	v_addc_co_u32_e32 v34, vcc, 0, v34, vcc
	flat_load_dword v33, v[33:34]
	s_or_b64 exec, exec, s[4:5]
                                        ; implicit-def: $vgpr34
	s_and_saveexec_b64 s[4:5], s[26:27]
	s_cbranch_execz .LBB41_114
.LBB41_214:
	v_lshlrev_b32_e32 v34, 2, v35
	v_mov_b32_e32 v35, s69
	v_add_co_u32_e32 v34, vcc, s68, v34
	v_addc_co_u32_e32 v35, vcc, 0, v35, vcc
	flat_load_dword v34, v[34:35]
	s_or_b64 exec, exec, s[4:5]
                                        ; implicit-def: $vgpr35
	s_and_saveexec_b64 s[4:5], s[28:29]
	s_cbranch_execz .LBB41_115
.LBB41_215:
	v_lshlrev_b32_e32 v35, 2, v36
	v_mov_b32_e32 v36, s69
	v_add_co_u32_e32 v35, vcc, s68, v35
	v_addc_co_u32_e32 v36, vcc, 0, v36, vcc
	flat_load_dword v35, v[35:36]
	s_or_b64 exec, exec, s[4:5]
                                        ; implicit-def: $vgpr36
	s_and_saveexec_b64 s[4:5], s[30:31]
	s_cbranch_execz .LBB41_116
.LBB41_216:
	v_lshlrev_b32_e32 v36, 2, v37
	v_mov_b32_e32 v37, s69
	v_add_co_u32_e32 v36, vcc, s68, v36
	v_addc_co_u32_e32 v37, vcc, 0, v37, vcc
	flat_load_dword v36, v[36:37]
	s_or_b64 exec, exec, s[4:5]
                                        ; implicit-def: $vgpr37
	s_and_saveexec_b64 s[4:5], s[34:35]
	s_cbranch_execnz .LBB41_117
	s_branch .LBB41_118
.LBB41_217:
                                        ; implicit-def: $sgpr8_sgpr9
	s_branch .LBB41_223
.LBB41_218:
                                        ; implicit-def: $sgpr8_sgpr9
.LBB41_219:
	s_add_u32 s4, s52, -1
	s_addc_u32 s5, s53, -1
	s_or_b64 s[6:7], s[4:5], s[50:51]
	s_mov_b32 s6, 0
	s_cmp_lg_u64 s[6:7], 0
	s_mov_b64 s[6:7], -1
	s_cbranch_scc0 .LBB41_331
; %bb.220:
	v_cvt_f32_u32_e32 v30, s50
	v_cvt_f32_u32_e32 v31, s51
	s_sub_u32 s10, 0, s50
	s_subb_u32 s11, 0, s51
	v_madmk_f32 v30, v31, 0x4f800000, v30
	v_rcp_f32_e32 v30, v30
	v_mul_f32_e32 v30, 0x5f7ffffc, v30
	v_mul_f32_e32 v31, 0x2f800000, v30
	v_trunc_f32_e32 v31, v31
	v_madmk_f32 v30, v31, 0xcf800000, v30
	v_cvt_u32_f32_e32 v31, v31
	v_cvt_u32_f32_e32 v30, v30
	v_readfirstlane_b32 s12, v31
	s_waitcnt lgkmcnt(0)
	v_readfirstlane_b32 s8, v30
	s_mul_i32 s9, s10, s12
	s_mul_hi_u32 s14, s10, s8
	s_mul_i32 s13, s11, s8
	s_add_i32 s9, s14, s9
	s_add_i32 s9, s9, s13
	s_mul_i32 s15, s10, s8
	s_mul_i32 s14, s8, s9
	s_mul_hi_u32 s16, s8, s15
	s_mul_hi_u32 s13, s8, s9
	s_add_u32 s14, s16, s14
	s_addc_u32 s13, 0, s13
	s_mul_hi_u32 s17, s12, s15
	s_mul_i32 s15, s12, s15
	s_add_u32 s14, s14, s15
	s_mul_hi_u32 s16, s12, s9
	s_addc_u32 s13, s13, s17
	s_addc_u32 s14, s16, 0
	s_mul_i32 s9, s12, s9
	s_add_u32 s9, s13, s9
	s_addc_u32 s13, 0, s14
	s_add_u32 s14, s8, s9
	s_cselect_b64 s[8:9], -1, 0
	s_cmp_lg_u64 s[8:9], 0
	s_addc_u32 s12, s12, s13
	s_mul_i32 s8, s10, s12
	s_mul_hi_u32 s9, s10, s14
	s_add_i32 s8, s9, s8
	s_mul_i32 s11, s11, s14
	s_add_i32 s8, s8, s11
	s_mul_i32 s10, s10, s14
	s_mul_hi_u32 s11, s12, s10
	s_mul_i32 s13, s12, s10
	s_mul_i32 s16, s14, s8
	s_mul_hi_u32 s10, s14, s10
	s_mul_hi_u32 s15, s14, s8
	s_add_u32 s10, s10, s16
	s_addc_u32 s15, 0, s15
	s_add_u32 s10, s10, s13
	s_mul_hi_u32 s9, s12, s8
	s_addc_u32 s10, s15, s11
	s_addc_u32 s9, s9, 0
	s_mul_i32 s8, s12, s8
	s_add_u32 s8, s10, s8
	s_addc_u32 s10, 0, s9
	s_add_u32 s11, s14, s8
	s_cselect_b64 s[8:9], -1, 0
	s_cmp_lg_u64 s[8:9], 0
	s_addc_u32 s8, s12, s10
	s_mul_i32 s10, s4, s8
	s_mul_hi_u32 s12, s4, s11
	s_mul_hi_u32 s9, s4, s8
	s_add_u32 s10, s12, s10
	s_addc_u32 s9, 0, s9
	s_mul_hi_u32 s13, s5, s11
	s_mul_i32 s11, s5, s11
	s_add_u32 s10, s10, s11
	s_mul_hi_u32 s12, s5, s8
	s_addc_u32 s9, s9, s13
	s_addc_u32 s10, s12, 0
	s_mul_i32 s8, s5, s8
	s_add_u32 s12, s9, s8
	s_addc_u32 s13, 0, s10
	s_mul_i32 s8, s50, s13
	s_mul_hi_u32 s9, s50, s12
	s_add_i32 s8, s9, s8
	s_mul_i32 s9, s51, s12
	s_add_i32 s14, s8, s9
	s_sub_i32 s10, s5, s14
	s_mul_i32 s8, s50, s12
	s_sub_u32 s15, s4, s8
	s_cselect_b64 s[8:9], -1, 0
	s_cmp_lg_u64 s[8:9], 0
	s_subb_u32 s16, s10, s51
	s_sub_u32 s17, s15, s50
	s_cselect_b64 s[10:11], -1, 0
	s_cmp_lg_u64 s[10:11], 0
	s_subb_u32 s10, s16, 0
	s_cmp_ge_u32 s10, s51
	s_cselect_b32 s11, -1, 0
	s_cmp_ge_u32 s17, s50
	s_cselect_b32 s16, -1, 0
	s_cmp_eq_u32 s10, s51
	s_cselect_b32 s10, s16, s11
	s_add_u32 s11, s12, 1
	s_addc_u32 s16, s13, 0
	s_add_u32 s17, s12, 2
	s_addc_u32 s18, s13, 0
	s_cmp_lg_u32 s10, 0
	s_cselect_b32 s10, s17, s11
	s_cselect_b32 s11, s18, s16
	s_cmp_lg_u64 s[8:9], 0
	s_subb_u32 s5, s5, s14
	s_cmp_ge_u32 s5, s51
	s_cselect_b32 s8, -1, 0
	s_cmp_ge_u32 s15, s50
	s_cselect_b32 s9, -1, 0
	s_cmp_eq_u32 s5, s51
	s_cselect_b32 s5, s9, s8
	s_cmp_lg_u32 s5, 0
	s_cselect_b32 s9, s11, s13
	s_cselect_b32 s8, s10, s12
	s_cbranch_execnz .LBB41_222
.LBB41_221:
	v_cvt_f32_u32_e32 v30, s50
	s_sub_i32 s5, 0, s50
	s_waitcnt lgkmcnt(0)
	s_mov_b32 s9, 0
	v_rcp_iflag_f32_e32 v30, v30
	v_mul_f32_e32 v30, 0x4f7ffffe, v30
	v_cvt_u32_f32_e32 v30, v30
	v_readfirstlane_b32 s6, v30
	s_mul_i32 s5, s5, s6
	s_mul_hi_u32 s5, s6, s5
	s_add_i32 s6, s6, s5
	s_mul_hi_u32 s5, s4, s6
	s_mul_i32 s7, s5, s50
	s_sub_i32 s4, s4, s7
	s_add_i32 s6, s5, 1
	s_sub_i32 s7, s4, s50
	s_cmp_ge_u32 s4, s50
	s_cselect_b32 s5, s6, s5
	s_cselect_b32 s4, s7, s4
	s_add_i32 s6, s5, 1
	s_cmp_ge_u32 s4, s50
	s_cselect_b32 s8, s6, s5
.LBB41_222:
	s_cbranch_execnz .LBB41_226
.LBB41_223:
	s_or_b64 s[4:5], s[52:53], s[50:51]
	s_mov_b32 s4, 0
	s_cmp_lg_u64 s[4:5], 0
	s_cbranch_scc0 .LBB41_329
; %bb.224:
	v_cvt_f32_u32_e32 v30, s50
	v_cvt_f32_u32_e32 v31, s51
	s_waitcnt lgkmcnt(0)
	s_sub_u32 s8, 0, s50
	s_subb_u32 s9, 0, s51
	v_madmk_f32 v30, v31, 0x4f800000, v30
	v_rcp_f32_e32 v30, v30
	v_mul_f32_e32 v30, 0x5f7ffffc, v30
	v_mul_f32_e32 v31, 0x2f800000, v30
	v_trunc_f32_e32 v31, v31
	v_madmk_f32 v30, v31, 0xcf800000, v30
	v_cvt_u32_f32_e32 v31, v31
	v_cvt_u32_f32_e32 v30, v30
	v_readfirstlane_b32 s10, v31
	v_readfirstlane_b32 s6, v30
	s_mul_i32 s7, s8, s10
	s_mul_hi_u32 s12, s8, s6
	s_mul_i32 s11, s9, s6
	s_add_i32 s7, s12, s7
	s_add_i32 s7, s7, s11
	s_mul_i32 s13, s8, s6
	s_mul_i32 s12, s6, s7
	s_mul_hi_u32 s14, s6, s13
	s_mul_hi_u32 s11, s6, s7
	s_add_u32 s12, s14, s12
	s_addc_u32 s11, 0, s11
	s_mul_hi_u32 s15, s10, s13
	s_mul_i32 s13, s10, s13
	s_add_u32 s12, s12, s13
	s_mul_hi_u32 s14, s10, s7
	s_addc_u32 s11, s11, s15
	s_addc_u32 s12, s14, 0
	s_mul_i32 s7, s10, s7
	s_add_u32 s7, s11, s7
	s_addc_u32 s11, 0, s12
	s_add_u32 s12, s6, s7
	s_cselect_b64 s[6:7], -1, 0
	s_cmp_lg_u64 s[6:7], 0
	s_addc_u32 s10, s10, s11
	s_mul_i32 s6, s8, s10
	s_mul_hi_u32 s7, s8, s12
	s_add_i32 s6, s7, s6
	s_mul_i32 s9, s9, s12
	s_add_i32 s6, s6, s9
	s_mul_i32 s8, s8, s12
	s_mul_hi_u32 s9, s10, s8
	s_mul_i32 s11, s10, s8
	s_mul_i32 s14, s12, s6
	s_mul_hi_u32 s8, s12, s8
	s_mul_hi_u32 s13, s12, s6
	s_add_u32 s8, s8, s14
	s_addc_u32 s13, 0, s13
	s_add_u32 s8, s8, s11
	s_mul_hi_u32 s7, s10, s6
	s_addc_u32 s8, s13, s9
	s_addc_u32 s7, s7, 0
	s_mul_i32 s6, s10, s6
	s_add_u32 s6, s8, s6
	s_addc_u32 s8, 0, s7
	s_add_u32 s9, s12, s6
	s_cselect_b64 s[6:7], -1, 0
	s_cmp_lg_u64 s[6:7], 0
	s_addc_u32 s6, s10, s8
	s_mul_i32 s8, s52, s6
	s_mul_hi_u32 s10, s52, s9
	s_mul_hi_u32 s7, s52, s6
	s_add_u32 s8, s10, s8
	s_addc_u32 s7, 0, s7
	s_mul_hi_u32 s11, s53, s9
	s_mul_i32 s9, s53, s9
	s_add_u32 s8, s8, s9
	s_mul_hi_u32 s10, s53, s6
	s_addc_u32 s7, s7, s11
	s_addc_u32 s8, s10, 0
	s_mul_i32 s6, s53, s6
	s_add_u32 s10, s7, s6
	s_addc_u32 s11, 0, s8
	s_mul_i32 s6, s50, s11
	s_mul_hi_u32 s7, s50, s10
	s_add_i32 s6, s7, s6
	s_mul_i32 s7, s51, s10
	s_add_i32 s12, s6, s7
	s_sub_i32 s8, s53, s12
	s_mul_i32 s6, s50, s10
	s_sub_u32 s13, s52, s6
	s_cselect_b64 s[6:7], -1, 0
	s_cmp_lg_u64 s[6:7], 0
	s_subb_u32 s14, s8, s51
	s_sub_u32 s15, s13, s50
	s_cselect_b64 s[8:9], -1, 0
	s_cmp_lg_u64 s[8:9], 0
	s_subb_u32 s8, s14, 0
	s_cmp_ge_u32 s8, s51
	s_cselect_b32 s9, -1, 0
	s_cmp_ge_u32 s15, s50
	s_cselect_b32 s14, -1, 0
	s_cmp_eq_u32 s8, s51
	s_cselect_b32 s8, s14, s9
	s_add_u32 s9, s10, 1
	s_addc_u32 s14, s11, 0
	s_add_u32 s15, s10, 2
	s_addc_u32 s16, s11, 0
	s_cmp_lg_u32 s8, 0
	s_cselect_b32 s8, s15, s9
	s_cselect_b32 s9, s16, s14
	s_cmp_lg_u64 s[6:7], 0
	s_subb_u32 s6, s53, s12
	s_cmp_ge_u32 s6, s51
	s_cselect_b32 s7, -1, 0
	s_cmp_ge_u32 s13, s50
	s_cselect_b32 s12, -1, 0
	s_cmp_eq_u32 s6, s51
	s_cselect_b32 s6, s12, s7
	s_cmp_lg_u32 s6, 0
	s_cselect_b32 s9, s9, s11
	s_cselect_b32 s8, s8, s10
	s_cbranch_execnz .LBB41_226
.LBB41_225:
	v_cvt_f32_u32_e32 v30, s50
	s_sub_i32 s4, 0, s50
	s_waitcnt lgkmcnt(0)
	s_mov_b32 s9, 0
	v_rcp_iflag_f32_e32 v30, v30
	v_mul_f32_e32 v30, 0x4f7ffffe, v30
	v_cvt_u32_f32_e32 v30, v30
	v_readfirstlane_b32 s5, v30
	s_mul_i32 s4, s4, s5
	s_mul_hi_u32 s4, s5, s4
	s_add_i32 s5, s5, s4
	s_mul_hi_u32 s4, s52, s5
	s_mul_i32 s6, s4, s50
	s_sub_i32 s6, s52, s6
	s_add_i32 s5, s4, 1
	s_sub_i32 s7, s6, s50
	s_cmp_ge_u32 s6, s50
	s_cselect_b32 s4, s5, s4
	s_cselect_b32 s6, s7, s6
	s_add_i32 s5, s4, 1
	s_cmp_ge_u32 s6, s50
	s_cselect_b32 s8, s5, s4
.LBB41_226:
	s_movk_i32 s4, 0xff98
	v_mad_i32_i24 v31, v0, s4, v29
	s_waitcnt lgkmcnt(0)
	v_mov_b32_e32 v30, s9
	v_mov_b32_e32 v29, s8
	ds_write_b64 v31, v[7:8] offset:28672
	s_waitcnt lgkmcnt(0)
	s_barrier
	s_and_saveexec_b64 s[4:5], s[36:37]
; %bb.227:
	ds_read_b64 v[29:30], v31 offset:28664
; %bb.228:
	s_or_b64 exec, exec, s[4:5]
	v_lshlrev_b32_e32 v32, 2, v0
	v_mov_b32_e32 v33, s69
	v_add_co_u32_e32 v32, vcc, s68, v32
	v_addc_co_u32_e32 v33, vcc, 0, v33, vcc
	s_movk_i32 s4, 0x1000
	v_add_co_u32_e32 v34, vcc, s4, v32
	v_addc_co_u32_e32 v35, vcc, 0, v33, vcc
	s_movk_i32 s4, 0x2000
	s_waitcnt lgkmcnt(0)
	s_barrier
	flat_load_dword v36, v[32:33]
	flat_load_dword v37, v[32:33] offset:1024
	flat_load_dword v38, v[32:33] offset:2048
	;; [unrolled: 1-line block ×3, first 2 shown]
	flat_load_dword v40, v[34:35]
	flat_load_dword v41, v[34:35] offset:1024
	flat_load_dword v42, v[34:35] offset:2048
	;; [unrolled: 1-line block ×3, first 2 shown]
	v_add_co_u32_e32 v34, vcc, s4, v32
	v_addc_co_u32_e32 v35, vcc, 0, v33, vcc
	s_movk_i32 s4, 0x3000
	v_add_co_u32_e32 v32, vcc, s4, v32
	v_addc_co_u32_e32 v33, vcc, 0, v33, vcc
	flat_load_dword v44, v[34:35]
	flat_load_dword v45, v[34:35] offset:1024
	flat_load_dword v46, v[34:35] offset:2048
	;; [unrolled: 1-line block ×3, first 2 shown]
	flat_load_dword v48, v[32:33]
	flat_load_dword v49, v[32:33] offset:1024
	v_cmp_ne_u64_e32 vcc, v[29:30], v[25:26]
	v_cmp_ne_u64_e64 s[6:7], v[5:6], v[7:8]
	v_cndmask_b32_e64 v30, 0, 1, vcc
	v_cmp_ne_u64_e32 vcc, v[25:26], v[27:28]
	v_lshlrev_b32_e32 v7, 2, v0
	v_cndmask_b32_e64 v56, 0, 1, vcc
	v_cmp_ne_u64_e32 vcc, v[27:28], v[21:22]
	v_sub_u32_e32 v7, v31, v7
	v_cndmask_b32_e64 v58, 0, 1, vcc
	v_cmp_ne_u64_e32 vcc, v[21:22], v[23:24]
	s_mov_b64 s[10:11], -1
	v_cndmask_b32_e64 v60, 0, 1, vcc
	v_cmp_ne_u64_e32 vcc, v[23:24], v[17:18]
	s_waitcnt vmcnt(0) lgkmcnt(0)
	ds_write2st64_b32 v7, v36, v37 offset1:4
	ds_write2st64_b32 v7, v38, v39 offset0:8 offset1:12
	ds_write2st64_b32 v7, v40, v41 offset0:16 offset1:20
	;; [unrolled: 1-line block ×6, first 2 shown]
	v_cndmask_b32_e64 v62, 0, 1, vcc
	v_cmp_ne_u64_e32 vcc, v[17:18], v[19:20]
	s_waitcnt lgkmcnt(0)
	v_cndmask_b32_e64 v64, 0, 1, vcc
	v_cmp_ne_u64_e32 vcc, v[19:20], v[13:14]
	v_mad_u32_u24 v19, v0, 52, v7
	v_cndmask_b32_e64 v66, 0, 1, vcc
	v_cmp_ne_u64_e32 vcc, v[13:14], v[15:16]
	s_barrier
	v_cndmask_b32_e64 v68, 0, 1, vcc
	v_cmp_ne_u64_e32 vcc, v[15:16], v[9:10]
	v_cndmask_b32_e64 v70, 0, 1, vcc
	v_cmp_ne_u64_e32 vcc, v[9:10], v[11:12]
	ds_read2_b64 v[7:10], v19 offset1:1
	v_cndmask_b32_e64 v72, 0, 1, vcc
	v_cmp_ne_u64_e32 vcc, v[11:12], v[1:2]
	ds_read2_b64 v[11:14], v19 offset0:2 offset1:3
	ds_read2_b64 v[15:18], v19 offset0:4 offset1:5
	ds_read_b64 v[77:78], v19 offset:48
	v_cndmask_b32_e64 v74, 0, 1, vcc
	v_cmp_ne_u64_e32 vcc, v[1:2], v[3:4]
	s_waitcnt lgkmcnt(3)
	v_mov_b32_e32 v55, v8
	v_mov_b32_e32 v57, v9
	;; [unrolled: 1-line block ×3, first 2 shown]
	s_waitcnt lgkmcnt(2)
	v_mov_b32_e32 v61, v11
	v_mov_b32_e32 v63, v12
	;; [unrolled: 1-line block ×4, first 2 shown]
	s_waitcnt lgkmcnt(1)
	v_mov_b32_e32 v69, v15
	v_mov_b32_e32 v71, v16
	v_mov_b32_e32 v73, v17
	v_cndmask_b32_e64 v76, 0, 1, vcc
	v_mov_b32_e32 v75, v18
	v_cmp_ne_u64_e32 vcc, v[3:4], v[5:6]
	v_mov_b32_e32 v53, v55
	v_mov_b32_e32 v51, v57
	;; [unrolled: 1-line block ×12, first 2 shown]
	v_cndmask_b32_e64 v32, 0, 1, vcc
	s_waitcnt lgkmcnt(0)
	v_mov_b32_e32 v31, v77
	v_mov_b32_e32 v54, v56
	;; [unrolled: 1-line block ×12, first 2 shown]
.LBB41_229:
	v_mov_b32_e32 v9, 0
	v_mov_b32_e32 v10, 0
	s_and_saveexec_b64 s[4:5], s[10:11]
	s_cbranch_execz .LBB41_231
; %bb.230:
	v_mov_b32_e32 v33, v75
	v_mov_b32_e32 v35, v73
	;; [unrolled: 1-line block ×11, first 2 shown]
	v_cndmask_b32_e64 v10, 0, 1, s[6:7]
	v_mov_b32_e32 v9, v78
	v_mov_b32_e32 v34, v76
	;; [unrolled: 1-line block ×12, first 2 shown]
.LBB41_231:
	s_or_b64 exec, exec, s[4:5]
	s_mov_b32 s4, 0
	s_cmp_lg_u32 s59, 0
	v_or_b32_e32 v21, v42, v40
	v_or_b32_e32 v20, v34, v32
	v_mbcnt_lo_u32_b32 v18, -1, 0
	v_lshrrev_b32_e32 v19, 6, v0
	v_or_b32_e32 v17, 63, v0
	s_waitcnt lgkmcnt(0)
	s_barrier
	s_cbranch_scc0 .LBB41_255
; %bb.232:
	s_mov_b32 s5, 1
	v_cmp_gt_u64_e64 s[6:7], s[4:5], v[53:54]
	v_cmp_gt_u64_e64 s[8:9], s[4:5], v[51:52]
	v_cndmask_b32_e64 v1, 0, v29, s[6:7]
	v_add_u32_e32 v1, v1, v53
	v_cndmask_b32_e64 v1, 0, v1, s[8:9]
	v_cmp_gt_u64_e64 s[10:11], s[4:5], v[49:50]
	v_add_u32_e32 v1, v1, v51
	v_cndmask_b32_e64 v1, 0, v1, s[10:11]
	v_cmp_gt_u64_e64 s[12:13], s[4:5], v[47:48]
	;; [unrolled: 3-line block ×10, first 2 shown]
	v_add_u32_e32 v1, v1, v33
	v_or3_b32 v2, v21, v44, v46
	v_cndmask_b32_e64 v1, 0, v1, s[28:29]
	v_cmp_gt_u64_e64 s[30:31], s[4:5], v[9:10]
	v_or3_b32 v2, v2, v48, v50
	v_add_u32_e32 v1, v1, v31
	v_or3_b32 v2, v2, v52, v54
	v_or3_b32 v3, v20, v36, v38
	v_cndmask_b32_e64 v1, 0, v1, s[30:31]
	v_add_u32_e32 v4, v1, v9
	v_or3_b32 v1, v10, v3, v2
	v_and_b32_e32 v2, 0xff, v1
	v_mov_b32_e32 v1, 0
	v_cmp_eq_u64_e32 vcc, 0, v[1:2]
	v_mbcnt_hi_u32_b32 v14, -1, v18
	v_cndmask_b32_e32 v1, 1, v30, vcc
	v_mov_b32_dpp v3, v4 row_shr:1 row_mask:0xf bank_mask:0xf
	v_cmp_eq_u32_e32 vcc, 0, v1
	v_mov_b32_dpp v5, v1 row_shr:1 row_mask:0xf bank_mask:0xf
	v_and_b32_e32 v6, 1, v1
	v_and_b32_e32 v2, 15, v14
	v_cndmask_b32_e32 v3, 0, v3, vcc
	v_and_b32_e32 v5, 1, v5
	v_cmp_eq_u32_e32 vcc, 1, v6
	v_cndmask_b32_e64 v5, v5, 1, vcc
	v_cmp_eq_u32_e32 vcc, 0, v2
	v_cndmask_b32_e32 v1, v5, v1, vcc
	v_and_b32_e32 v6, 1, v1
	v_cmp_eq_u32_e64 s[4:5], 1, v6
	v_mov_b32_dpp v5, v1 row_shr:2 row_mask:0xf bank_mask:0xf
	v_and_b32_e32 v5, 1, v5
	v_cndmask_b32_e64 v5, v5, 1, s[4:5]
	v_cmp_lt_u32_e64 s[4:5], 1, v2
	v_cndmask_b32_e64 v3, v3, 0, vcc
	v_cmp_eq_u32_e32 vcc, 0, v1
	v_cndmask_b32_e64 v1, v1, v5, s[4:5]
	v_add_u32_e32 v3, v3, v4
	v_and_b32_e32 v6, 1, v1
	v_mov_b32_dpp v5, v1 row_shr:4 row_mask:0xf bank_mask:0xf
	v_mov_b32_dpp v4, v3 row_shr:2 row_mask:0xf bank_mask:0xf
	s_and_b64 vcc, s[4:5], vcc
	v_and_b32_e32 v5, 1, v5
	v_cmp_eq_u32_e64 s[4:5], 1, v6
	v_cndmask_b32_e32 v4, 0, v4, vcc
	v_cndmask_b32_e64 v5, v5, 1, s[4:5]
	v_cmp_lt_u32_e64 s[4:5], 3, v2
	v_add_u32_e32 v3, v4, v3
	v_cmp_eq_u32_e32 vcc, 0, v1
	v_cndmask_b32_e64 v1, v1, v5, s[4:5]
	v_mov_b32_dpp v4, v3 row_shr:4 row_mask:0xf bank_mask:0xf
	s_and_b64 vcc, s[4:5], vcc
	v_mov_b32_dpp v5, v1 row_shr:8 row_mask:0xf bank_mask:0xf
	v_and_b32_e32 v6, 1, v1
	v_cndmask_b32_e32 v4, 0, v4, vcc
	v_and_b32_e32 v5, 1, v5
	v_cmp_eq_u32_e64 s[4:5], 1, v6
	v_add_u32_e32 v3, v4, v3
	v_cmp_eq_u32_e32 vcc, 0, v1
	v_cndmask_b32_e64 v5, v5, 1, s[4:5]
	v_cmp_lt_u32_e64 s[4:5], 7, v2
	v_mov_b32_dpp v4, v3 row_shr:8 row_mask:0xf bank_mask:0xf
	s_and_b64 vcc, s[4:5], vcc
	v_cndmask_b32_e32 v2, 0, v4, vcc
	v_cndmask_b32_e64 v1, v1, v5, s[4:5]
	v_add_u32_e32 v2, v2, v3
	v_cmp_eq_u32_e32 vcc, 0, v1
	v_mov_b32_dpp v4, v1 row_bcast:15 row_mask:0xf bank_mask:0xf
	v_mov_b32_dpp v3, v2 row_bcast:15 row_mask:0xf bank_mask:0xf
	v_and_b32_e32 v7, 1, v1
	v_and_b32_e32 v6, 16, v14
	v_cndmask_b32_e32 v3, 0, v3, vcc
	v_and_b32_e32 v4, 1, v4
	v_cmp_eq_u32_e32 vcc, 1, v7
	v_bfe_i32 v5, v14, 4, 1
	v_cndmask_b32_e64 v4, v4, 1, vcc
	v_cmp_eq_u32_e32 vcc, 0, v6
	v_and_b32_e32 v3, v5, v3
	v_cndmask_b32_e32 v1, v4, v1, vcc
	v_add_u32_e32 v2, v3, v2
	v_and_b32_e32 v5, 1, v1
	v_mov_b32_dpp v3, v1 row_bcast:31 row_mask:0xf bank_mask:0xf
	v_and_b32_e32 v3, 1, v3
	v_cmp_eq_u32_e64 s[4:5], 1, v5
	v_cmp_eq_u32_e32 vcc, 0, v1
	v_cndmask_b32_e64 v3, v3, 1, s[4:5]
	v_cmp_lt_u32_e64 s[4:5], 31, v14
	v_mov_b32_dpp v4, v2 row_bcast:31 row_mask:0xf bank_mask:0xf
	s_and_b64 vcc, s[4:5], vcc
	v_cndmask_b32_e64 v3, v1, v3, s[4:5]
	v_cndmask_b32_e32 v1, 0, v4, vcc
	v_add_u32_e32 v4, v1, v2
	v_cmp_eq_u32_e32 vcc, v0, v17
	v_lshlrev_b32_e32 v5, 3, v19
	s_and_saveexec_b64 s[4:5], vcc
	s_cbranch_execz .LBB41_234
; %bb.233:
	ds_write_b32 v5, v4
	ds_write_b8 v5, v3 offset:4
.LBB41_234:
	s_or_b64 exec, exec, s[4:5]
	v_cmp_gt_u32_e32 vcc, 4, v0
	s_waitcnt lgkmcnt(0)
	s_barrier
	s_and_saveexec_b64 s[4:5], vcc
	s_cbranch_execz .LBB41_238
; %bb.235:
	v_lshlrev_b32_e32 v6, 3, v0
	ds_read_b64 v[1:2], v6
	v_and_b32_e32 v7, 3, v14
	v_cmp_ne_u32_e32 vcc, 0, v7
	s_waitcnt lgkmcnt(0)
	v_mov_b32_dpp v8, v1 row_shr:1 row_mask:0xf bank_mask:0xf
	v_mov_b32_dpp v12, v2 row_shr:1 row_mask:0xf bank_mask:0xf
	v_mov_b32_e32 v11, v2
	s_and_saveexec_b64 s[34:35], vcc
	s_cbranch_execz .LBB41_237
; %bb.236:
	v_and_b32_e32 v11, 1, v2
	v_and_b32_e32 v12, 1, v12
	v_cmp_eq_u32_e32 vcc, 1, v11
	v_mov_b32_e32 v11, 0
	v_cndmask_b32_e64 v12, v12, 1, vcc
	v_cmp_eq_u16_sdwa vcc, v2, v11 src0_sel:BYTE_0 src1_sel:DWORD
	v_cndmask_b32_e32 v8, 0, v8, vcc
	v_add_u32_e32 v1, v8, v1
	v_and_b32_e32 v8, 0xffff, v12
	s_movk_i32 s40, 0xff00
	v_and_or_b32 v11, v2, s40, v8
	v_mov_b32_e32 v2, v12
.LBB41_237:
	s_or_b64 exec, exec, s[34:35]
	v_mov_b32_dpp v11, v11 row_shr:2 row_mask:0xf bank_mask:0xf
	v_and_b32_e32 v12, 1, v2
	v_and_b32_e32 v11, 1, v11
	v_cmp_eq_u32_e32 vcc, 1, v12
	v_mov_b32_e32 v12, 0
	v_cndmask_b32_e64 v11, v11, 1, vcc
	v_cmp_eq_u16_sdwa s[34:35], v2, v12 src0_sel:BYTE_0 src1_sel:DWORD
	v_cmp_lt_u32_e32 vcc, 1, v7
	v_mov_b32_dpp v8, v1 row_shr:2 row_mask:0xf bank_mask:0xf
	v_cndmask_b32_e32 v2, v2, v11, vcc
	s_and_b64 vcc, vcc, s[34:35]
	v_cndmask_b32_e32 v7, 0, v8, vcc
	v_add_u32_e32 v1, v7, v1
	ds_write_b32 v6, v1
	ds_write_b8 v6, v2 offset:4
.LBB41_238:
	s_or_b64 exec, exec, s[4:5]
	v_cmp_gt_u32_e32 vcc, 64, v0
	v_cmp_lt_u32_e64 s[4:5], 63, v0
	v_mov_b32_e32 v15, 0
	v_mov_b32_e32 v16, 0
	s_waitcnt lgkmcnt(0)
	s_barrier
	s_and_saveexec_b64 s[34:35], s[4:5]
	s_cbranch_execz .LBB41_240
; %bb.239:
	v_add_u32_e32 v1, -8, v5
	ds_read_b32 v15, v1
	v_add_u32_e32 v1, -4, v5
	ds_read_u8 v16, v1
	v_and_b32_e32 v2, 1, v3
	v_cmp_eq_u32_e64 s[4:5], 0, v3
	s_waitcnt lgkmcnt(1)
	v_cndmask_b32_e64 v1, 0, v15, s[4:5]
	v_cmp_eq_u32_e64 s[4:5], 1, v2
	v_add_u32_e32 v4, v1, v4
	s_waitcnt lgkmcnt(0)
	v_cndmask_b32_e64 v3, v16, 1, s[4:5]
.LBB41_240:
	s_or_b64 exec, exec, s[34:35]
	v_subrev_co_u32_e64 v1, s[34:35], 1, v14
	v_and_b32_e32 v2, 64, v14
	v_cmp_lt_i32_e64 s[4:5], v1, v2
	v_cndmask_b32_e64 v1, v1, v14, s[4:5]
	v_lshlrev_b32_e32 v1, 2, v1
	ds_bpermute_b32 v22, v1, v4
	ds_bpermute_b32 v23, v1, v3
	s_and_saveexec_b64 s[40:41], vcc
	s_cbranch_execz .LBB41_260
; %bb.241:
	v_mov_b32_e32 v4, 0
	ds_read_b64 v[1:2], v4 offset:24
	s_and_saveexec_b64 s[4:5], s[34:35]
	s_cbranch_execz .LBB41_243
; %bb.242:
	s_add_i32 s46, s59, 64
	s_mov_b32 s47, 0
	s_lshl_b64 s[46:47], s[46:47], 4
	s_add_u32 s46, s56, s46
	s_addc_u32 s47, s57, s47
	v_mov_b32_e32 v5, s46
	v_mov_b32_e32 v3, 1
	;; [unrolled: 1-line block ×3, first 2 shown]
	s_waitcnt lgkmcnt(0)
	;;#ASMSTART
	global_store_dwordx4 v[5:6], v[1:4] off	
s_waitcnt vmcnt(0)
	;;#ASMEND
.LBB41_243:
	s_or_b64 exec, exec, s[4:5]
	v_xad_u32 v11, v14, -1, s59
	v_add_u32_e32 v3, 64, v11
	v_lshlrev_b64 v[5:6], 4, v[3:4]
	v_mov_b32_e32 v3, s57
	v_add_co_u32_e32 v12, vcc, s56, v5
	v_addc_co_u32_e32 v13, vcc, v3, v6, vcc
	;;#ASMSTART
	global_load_dwordx4 v[5:8], v[12:13] off glc	
s_waitcnt vmcnt(0)
	;;#ASMEND
	v_and_b32_e32 v6, 0xff, v6
	v_cmp_eq_u16_sdwa s[46:47], v7, v4 src0_sel:BYTE_0 src1_sel:DWORD
	s_and_saveexec_b64 s[4:5], s[46:47]
	s_cbranch_execz .LBB41_247
; %bb.244:
	s_mov_b64 s[46:47], 0
	v_mov_b32_e32 v3, 0
.LBB41_245:                             ; =>This Inner Loop Header: Depth=1
	;;#ASMSTART
	global_load_dwordx4 v[5:8], v[12:13] off glc	
s_waitcnt vmcnt(0)
	;;#ASMEND
	v_cmp_ne_u16_sdwa s[50:51], v7, v3 src0_sel:BYTE_0 src1_sel:DWORD
	s_or_b64 s[46:47], s[50:51], s[46:47]
	s_andn2_b64 exec, exec, s[46:47]
	s_cbranch_execnz .LBB41_245
; %bb.246:
	s_or_b64 exec, exec, s[46:47]
	v_and_b32_e32 v6, 0xff, v6
.LBB41_247:
	s_or_b64 exec, exec, s[4:5]
	v_mov_b32_e32 v24, 2
	v_lshlrev_b64 v[3:4], v14, -1
	v_cmp_eq_u16_sdwa s[4:5], v7, v24 src0_sel:BYTE_0 src1_sel:DWORD
	v_and_b32_e32 v8, s5, v4
	v_or_b32_e32 v8, 0x80000000, v8
	v_and_b32_e32 v12, s4, v3
	v_ffbl_b32_e32 v8, v8
	v_and_b32_e32 v25, 63, v14
	v_add_u32_e32 v8, 32, v8
	v_ffbl_b32_e32 v12, v12
	v_cmp_ne_u32_e32 vcc, 63, v25
	v_min_u32_e32 v8, v12, v8
	v_addc_co_u32_e32 v12, vcc, 0, v14, vcc
	v_lshlrev_b32_e32 v26, 2, v12
	ds_bpermute_b32 v12, v26, v6
	s_mov_b32 s46, 0
	ds_bpermute_b32 v13, v26, v5
	v_and_b32_e32 v27, 1, v6
	s_mov_b32 s47, 1
	s_waitcnt lgkmcnt(1)
	v_and_b32_e32 v12, 1, v12
	v_cmp_eq_u32_e32 vcc, 1, v27
	v_cndmask_b32_e64 v12, v12, 1, vcc
	v_cmp_gt_u64_e32 vcc, s[46:47], v[5:6]
	v_cmp_lt_u32_e64 s[4:5], v25, v8
	s_and_b64 vcc, s[4:5], vcc
	v_and_b32_e32 v27, 0xffff, v12
	v_cndmask_b32_e64 v55, v6, v12, s[4:5]
	s_waitcnt lgkmcnt(0)
	v_cndmask_b32_e32 v12, 0, v13, vcc
	v_cmp_gt_u32_e32 vcc, 62, v25
	v_cndmask_b32_e64 v13, 0, 2, vcc
	v_cndmask_b32_e64 v6, v6, v27, s[4:5]
	v_add_lshl_u32 v27, v13, v14, 2
	ds_bpermute_b32 v13, v27, v6
	v_add_u32_e32 v5, v12, v5
	ds_bpermute_b32 v56, v27, v5
	v_and_b32_e32 v12, 1, v55
	v_cmp_eq_u32_e32 vcc, 1, v12
	s_waitcnt lgkmcnt(1)
	v_and_b32_e32 v13, 1, v13
	v_mov_b32_e32 v12, 0
	v_add_u32_e32 v28, 2, v25
	v_cndmask_b32_e64 v13, v13, 1, vcc
	v_cmp_eq_u16_sdwa vcc, v55, v12 src0_sel:BYTE_0 src1_sel:DWORD
	v_and_b32_e32 v57, 0xffff, v13
	s_waitcnt lgkmcnt(0)
	v_cndmask_b32_e32 v56, 0, v56, vcc
	v_cmp_gt_u32_e32 vcc, v28, v8
	v_cndmask_b32_e32 v13, v13, v55, vcc
	v_cndmask_b32_e64 v56, v56, 0, vcc
	v_cndmask_b32_e32 v6, v57, v6, vcc
	v_cmp_gt_u32_e32 vcc, 60, v25
	v_cndmask_b32_e64 v55, 0, 4, vcc
	v_add_lshl_u32 v55, v55, v14, 2
	ds_bpermute_b32 v57, v55, v6
	v_add_u32_e32 v5, v56, v5
	ds_bpermute_b32 v58, v55, v5
	v_and_b32_e32 v59, 1, v13
	v_cmp_eq_u32_e32 vcc, 1, v59
	s_waitcnt lgkmcnt(1)
	v_and_b32_e32 v57, 1, v57
	v_add_u32_e32 v56, 4, v25
	v_cndmask_b32_e64 v57, v57, 1, vcc
	v_cmp_eq_u16_sdwa vcc, v13, v12 src0_sel:BYTE_0 src1_sel:DWORD
	v_and_b32_e32 v59, 0xffff, v57
	s_waitcnt lgkmcnt(0)
	v_cndmask_b32_e32 v58, 0, v58, vcc
	v_cmp_gt_u32_e32 vcc, v56, v8
	v_cndmask_b32_e32 v13, v57, v13, vcc
	v_cndmask_b32_e64 v58, v58, 0, vcc
	v_cndmask_b32_e32 v6, v59, v6, vcc
	v_cmp_gt_u32_e32 vcc, 56, v25
	v_cndmask_b32_e64 v57, 0, 8, vcc
	v_add_lshl_u32 v57, v57, v14, 2
	ds_bpermute_b32 v59, v57, v6
	v_add_u32_e32 v5, v58, v5
	ds_bpermute_b32 v60, v57, v5
	v_and_b32_e32 v61, 1, v13
	v_cmp_eq_u32_e32 vcc, 1, v61
	s_waitcnt lgkmcnt(1)
	v_and_b32_e32 v59, 1, v59
	;; [unrolled: 20-line block ×3, first 2 shown]
	v_add_u32_e32 v61, 16, v25
	v_cndmask_b32_e64 v62, v62, 1, vcc
	v_cmp_eq_u16_sdwa vcc, v13, v12 src0_sel:BYTE_0 src1_sel:DWORD
	s_waitcnt lgkmcnt(0)
	v_cndmask_b32_e32 v60, 0, v60, vcc
	v_cmp_gt_u32_e32 vcc, v61, v8
	v_and_b32_e32 v63, 0xffff, v62
	v_cndmask_b32_e32 v13, v62, v13, vcc
	v_mov_b32_e32 v62, 0x80
	v_cndmask_b32_e32 v6, v63, v6, vcc
	v_lshl_or_b32 v63, v14, 2, v62
	v_cndmask_b32_e64 v60, v60, 0, vcc
	ds_bpermute_b32 v6, v63, v6
	v_add_u32_e32 v5, v60, v5
	ds_bpermute_b32 v14, v63, v5
	v_and_b32_e32 v60, 1, v13
	v_cmp_eq_u32_e32 vcc, 1, v60
	s_waitcnt lgkmcnt(1)
	v_and_b32_e32 v6, 1, v6
	v_add_u32_e32 v64, 32, v25
	v_cndmask_b32_e64 v6, v6, 1, vcc
	v_cmp_eq_u16_sdwa vcc, v13, v12 src0_sel:BYTE_0 src1_sel:DWORD
	s_waitcnt lgkmcnt(0)
	v_cndmask_b32_e32 v14, 0, v14, vcc
	v_cmp_gt_u32_e32 vcc, v64, v8
	v_cndmask_b32_e64 v8, v14, 0, vcc
	v_cndmask_b32_e32 v6, v6, v13, vcc
	v_add_u32_e32 v5, v8, v5
	s_branch .LBB41_251
.LBB41_248:                             ;   in Loop: Header=BB41_251 Depth=1
	s_or_b64 exec, exec, s[50:51]
	v_and_b32_e32 v6, 0xff, v6
.LBB41_249:                             ;   in Loop: Header=BB41_251 Depth=1
	s_or_b64 exec, exec, s[4:5]
	v_cmp_eq_u16_sdwa s[4:5], v7, v24 src0_sel:BYTE_0 src1_sel:DWORD
	v_and_b32_e32 v8, s5, v4
	ds_bpermute_b32 v14, v26, v6
	v_or_b32_e32 v8, 0x80000000, v8
	v_and_b32_e32 v13, s4, v3
	v_ffbl_b32_e32 v8, v8
	v_add_u32_e32 v8, 32, v8
	v_ffbl_b32_e32 v13, v13
	v_min_u32_e32 v8, v13, v8
	ds_bpermute_b32 v13, v26, v5
	v_and_b32_e32 v65, 1, v6
	s_waitcnt lgkmcnt(1)
	v_and_b32_e32 v14, 1, v14
	v_cmp_eq_u32_e32 vcc, 1, v65
	v_cndmask_b32_e64 v14, v14, 1, vcc
	v_cmp_gt_u64_e32 vcc, s[46:47], v[5:6]
	v_and_b32_e32 v65, 0xffff, v14
	v_cmp_lt_u32_e64 s[4:5], v25, v8
	v_cndmask_b32_e64 v14, v6, v14, s[4:5]
	v_cndmask_b32_e64 v6, v6, v65, s[4:5]
	s_and_b64 vcc, s[4:5], vcc
	ds_bpermute_b32 v65, v27, v6
	s_waitcnt lgkmcnt(1)
	v_cndmask_b32_e32 v13, 0, v13, vcc
	v_add_u32_e32 v5, v13, v5
	ds_bpermute_b32 v13, v27, v5
	v_and_b32_e32 v66, 1, v14
	s_waitcnt lgkmcnt(1)
	v_and_b32_e32 v65, 1, v65
	v_cmp_eq_u32_e32 vcc, 1, v66
	v_cndmask_b32_e64 v65, v65, 1, vcc
	v_cmp_eq_u16_sdwa vcc, v14, v12 src0_sel:BYTE_0 src1_sel:DWORD
	v_and_b32_e32 v66, 0xffff, v65
	s_waitcnt lgkmcnt(0)
	v_cndmask_b32_e32 v13, 0, v13, vcc
	v_cmp_gt_u32_e32 vcc, v28, v8
	v_cndmask_b32_e32 v6, v66, v6, vcc
	v_cndmask_b32_e32 v14, v65, v14, vcc
	ds_bpermute_b32 v65, v55, v6
	v_cndmask_b32_e64 v13, v13, 0, vcc
	v_add_u32_e32 v5, v13, v5
	ds_bpermute_b32 v13, v55, v5
	v_and_b32_e32 v66, 1, v14
	s_waitcnt lgkmcnt(1)
	v_and_b32_e32 v65, 1, v65
	v_cmp_eq_u32_e32 vcc, 1, v66
	v_cndmask_b32_e64 v65, v65, 1, vcc
	v_cmp_eq_u16_sdwa vcc, v14, v12 src0_sel:BYTE_0 src1_sel:DWORD
	v_and_b32_e32 v66, 0xffff, v65
	s_waitcnt lgkmcnt(0)
	v_cndmask_b32_e32 v13, 0, v13, vcc
	v_cmp_gt_u32_e32 vcc, v56, v8
	v_cndmask_b32_e32 v6, v66, v6, vcc
	v_cndmask_b32_e32 v14, v65, v14, vcc
	ds_bpermute_b32 v65, v57, v6
	v_cndmask_b32_e64 v13, v13, 0, vcc
	;; [unrolled: 16-line block ×3, first 2 shown]
	v_add_u32_e32 v5, v13, v5
	ds_bpermute_b32 v13, v59, v5
	v_and_b32_e32 v66, 1, v14
	s_waitcnt lgkmcnt(1)
	v_and_b32_e32 v65, 1, v65
	v_cmp_eq_u32_e32 vcc, 1, v66
	v_cndmask_b32_e64 v65, v65, 1, vcc
	v_cmp_eq_u16_sdwa vcc, v14, v12 src0_sel:BYTE_0 src1_sel:DWORD
	v_and_b32_e32 v66, 0xffff, v65
	s_waitcnt lgkmcnt(0)
	v_cndmask_b32_e32 v13, 0, v13, vcc
	v_cmp_gt_u32_e32 vcc, v61, v8
	v_cndmask_b32_e64 v13, v13, 0, vcc
	v_cndmask_b32_e32 v6, v66, v6, vcc
	ds_bpermute_b32 v6, v63, v6
	v_add_u32_e32 v5, v13, v5
	ds_bpermute_b32 v13, v63, v5
	v_cndmask_b32_e32 v14, v65, v14, vcc
	v_and_b32_e32 v65, 1, v14
	v_cmp_eq_u32_e32 vcc, 1, v65
	s_waitcnt lgkmcnt(1)
	v_cndmask_b32_e64 v6, v6, 1, vcc
	v_cmp_eq_u16_sdwa vcc, v14, v12 src0_sel:BYTE_0 src1_sel:DWORD
	s_waitcnt lgkmcnt(0)
	v_cndmask_b32_e32 v13, 0, v13, vcc
	v_cmp_gt_u32_e32 vcc, v64, v8
	v_cndmask_b32_e64 v8, v13, 0, vcc
	v_cndmask_b32_e32 v6, v6, v14, vcc
	v_add_u32_e32 v5, v8, v5
	v_cmp_eq_u16_sdwa vcc, v60, v12 src0_sel:BYTE_0 src1_sel:DWORD
	v_and_b32_e32 v8, 1, v60
	v_cndmask_b32_e32 v5, 0, v5, vcc
	v_and_b32_e32 v6, 1, v6
	v_cmp_eq_u32_e32 vcc, 1, v8
	v_subrev_u32_e32 v11, 64, v11
	v_add_u32_e32 v5, v5, v62
	v_cndmask_b32_e64 v6, v6, 1, vcc
	s_mov_b64 s[4:5], 0
.LBB41_250:                             ;   in Loop: Header=BB41_251 Depth=1
	s_and_b64 vcc, exec, s[4:5]
	s_cbranch_vccnz .LBB41_256
.LBB41_251:                             ; =>This Loop Header: Depth=1
                                        ;     Child Loop BB41_254 Depth 2
	v_cmp_ne_u16_sdwa s[4:5], v7, v24 src0_sel:BYTE_0 src1_sel:DWORD
	v_mov_b32_e32 v60, v6
	v_mov_b32_e32 v62, v5
	s_cmp_lg_u64 s[4:5], exec
	s_mov_b64 s[4:5], -1
                                        ; implicit-def: $vgpr6
                                        ; implicit-def: $vgpr5
                                        ; implicit-def: $vgpr7
	s_cbranch_scc1 .LBB41_250
; %bb.252:                              ;   in Loop: Header=BB41_251 Depth=1
	v_lshlrev_b64 v[5:6], 4, v[11:12]
	v_mov_b32_e32 v7, s57
	v_add_co_u32_e32 v13, vcc, s56, v5
	v_addc_co_u32_e32 v14, vcc, v7, v6, vcc
	;;#ASMSTART
	global_load_dwordx4 v[5:8], v[13:14] off glc	
s_waitcnt vmcnt(0)
	;;#ASMEND
	v_and_b32_e32 v6, 0xff, v6
	v_cmp_eq_u16_sdwa s[50:51], v7, v12 src0_sel:BYTE_0 src1_sel:DWORD
	s_and_saveexec_b64 s[4:5], s[50:51]
	s_cbranch_execz .LBB41_249
; %bb.253:                              ;   in Loop: Header=BB41_251 Depth=1
	s_mov_b64 s[50:51], 0
.LBB41_254:                             ;   Parent Loop BB41_251 Depth=1
                                        ; =>  This Inner Loop Header: Depth=2
	;;#ASMSTART
	global_load_dwordx4 v[5:8], v[13:14] off glc	
s_waitcnt vmcnt(0)
	;;#ASMEND
	v_cmp_ne_u16_sdwa s[52:53], v7, v12 src0_sel:BYTE_0 src1_sel:DWORD
	s_or_b64 s[50:51], s[52:53], s[50:51]
	s_andn2_b64 exec, exec, s[50:51]
	s_cbranch_execnz .LBB41_254
	s_branch .LBB41_248
.LBB41_255:
                                        ; implicit-def: $vgpr1
                                        ; implicit-def: $vgpr3
                                        ; implicit-def: $vgpr11
                                        ; implicit-def: $vgpr15
                                        ; implicit-def: $vgpr13_vgpr14
                                        ; implicit-def: $vgpr7_vgpr8
                                        ; implicit-def: $vgpr5_vgpr6
	s_cbranch_execnz .LBB41_261
	s_branch .LBB41_276
.LBB41_256:
	s_and_saveexec_b64 s[4:5], s[34:35]
	s_cbranch_execz .LBB41_258
; %bb.257:
	s_mov_b32 s47, 0
	v_mov_b32_e32 v4, 0
	s_add_i32 s46, s59, 64
	v_cmp_eq_u32_sdwa vcc, v2, v4 src0_sel:BYTE_0 src1_sel:DWORD
	s_lshl_b64 s[46:47], s[46:47], 4
	v_cndmask_b32_e32 v3, 0, v62, vcc
	v_and_b32_e32 v2, 1, v2
	s_add_u32 s46, s56, s46
	v_add_u32_e32 v1, v3, v1
	s_addc_u32 s47, s57, s47
	v_and_b32_e32 v3, 1, v60
	v_cmp_eq_u32_e32 vcc, 1, v2
	v_mov_b32_e32 v5, s46
	v_cndmask_b32_e64 v2, v3, 1, vcc
	v_mov_b32_e32 v3, 2
	v_mov_b32_e32 v6, s47
	;;#ASMSTART
	global_store_dwordx4 v[5:6], v[1:4] off	
s_waitcnt vmcnt(0)
	;;#ASMEND
.LBB41_258:
	s_or_b64 exec, exec, s[4:5]
	s_and_b64 exec, exec, s[0:1]
	s_cbranch_execz .LBB41_260
; %bb.259:
	v_mov_b32_e32 v1, 0
	ds_write_b32 v1, v62 offset:24
	ds_write_b8 v1, v60 offset:28
.LBB41_260:
	s_or_b64 exec, exec, s[40:41]
	s_mov_b32 s4, 0
	s_mov_b32 s5, 1
	v_mov_b32_e32 v3, 0
	v_cmp_gt_u64_e32 vcc, s[4:5], v[29:30]
	s_waitcnt lgkmcnt(0)
	v_cndmask_b32_e64 v1, v23, v16, s[34:35]
	v_cndmask_b32_e64 v2, v22, v15, s[34:35]
	s_barrier
	ds_read_b32 v4, v3 offset:24
	v_and_b32_e32 v5, 1, v30
	v_cndmask_b32_e32 v2, 0, v2, vcc
	v_and_b32_e32 v1, 1, v1
	v_cmp_eq_u32_e32 vcc, 1, v5
	v_cndmask_b32_e64 v1, v1, 1, vcc
	v_cndmask_b32_e64 v1, v1, v30, s[0:1]
	v_cmp_eq_u16_sdwa vcc, v1, v3 src0_sel:BYTE_0 src1_sel:DWORD
	v_cndmask_b32_e64 v2, v2, 0, s[0:1]
	s_waitcnt lgkmcnt(0)
	v_cndmask_b32_e32 v1, 0, v4, vcc
	v_add3_u32 v1, v2, v29, v1
	v_cndmask_b32_e64 v2, 0, v1, s[6:7]
	v_add_u32_e32 v2, v2, v53
	v_cndmask_b32_e64 v3, 0, v2, s[8:9]
	v_add_u32_e32 v5, v3, v51
	;; [unrolled: 2-line block ×13, first 2 shown]
	s_branch .LBB41_276
.LBB41_261:
	s_cmp_lg_u64 s[60:61], 0
	s_cselect_b64 s[4:5], -1, 0
	s_cmp_lg_u64 s[42:43], 0
	s_cselect_b64 s[6:7], -1, 0
	s_and_b64 s[4:5], s[4:5], s[6:7]
	s_and_b64 s[6:7], s[0:1], s[4:5]
	s_and_saveexec_b64 s[4:5], s[6:7]
	s_cbranch_execz .LBB41_263
; %bb.262:
	v_mov_b32_e32 v1, 0
	global_load_dword v3, v1, s[42:43]
	global_load_ubyte v4, v1, s[42:43] offset:4
	s_mov_b32 s6, 0
	s_mov_b32 s7, 1
	v_cmp_gt_u64_e32 vcc, s[6:7], v[29:30]
	v_and_b32_e32 v2, 1, v30
	s_waitcnt vmcnt(1)
	v_cndmask_b32_e32 v3, 0, v3, vcc
	v_cmp_eq_u64_e32 vcc, 0, v[1:2]
	s_waitcnt vmcnt(0)
	v_and_b32_e32 v4, 1, v4
	v_add_u32_e32 v29, v3, v29
	v_cndmask_b32_e32 v30, 1, v4, vcc
.LBB41_263:
	s_or_b64 exec, exec, s[4:5]
	s_mov_b32 s4, 0
	s_mov_b32 s5, 1
	v_cmp_gt_u64_e32 vcc, s[4:5], v[53:54]
	v_cmp_gt_u64_e64 s[6:7], s[4:5], v[51:52]
	v_cndmask_b32_e32 v1, 0, v29, vcc
	v_add_u32_e32 v2, v1, v53
	v_cndmask_b32_e64 v1, 0, v2, s[6:7]
	v_cmp_gt_u64_e64 s[8:9], s[4:5], v[49:50]
	v_add_u32_e32 v5, v1, v51
	v_cndmask_b32_e64 v1, 0, v5, s[8:9]
	v_cmp_gt_u64_e64 s[10:11], s[4:5], v[47:48]
	;; [unrolled: 3-line block ×8, first 2 shown]
	v_add_u32_e32 v12, v12, v37
	v_or3_b32 v1, v21, v44, v46
	v_cndmask_b32_e64 v13, 0, v12, s[22:23]
	v_cmp_gt_u64_e64 s[24:25], s[4:5], v[33:34]
	v_or3_b32 v1, v1, v48, v50
	v_add_u32_e32 v13, v13, v35
	v_or3_b32 v1, v1, v52, v54
	v_cndmask_b32_e64 v14, 0, v13, s[24:25]
	v_cmp_gt_u64_e64 s[26:27], s[4:5], v[31:32]
	v_or3_b32 v20, v20, v36, v38
	v_add_u32_e32 v14, v14, v33
	v_or3_b32 v1, v10, v20, v1
	v_cndmask_b32_e64 v15, 0, v14, s[26:27]
	v_cmp_gt_u64_e64 s[28:29], s[4:5], v[9:10]
	v_and_b32_e32 v21, 0xff, v1
	v_mov_b32_e32 v20, 0
	v_add_u32_e32 v15, v15, v31
	v_cmp_eq_u64_e64 s[4:5], 0, v[20:21]
	v_cndmask_b32_e64 v16, 0, v15, s[28:29]
	v_add_u32_e32 v16, v16, v9
	v_cndmask_b32_e64 v10, 1, v30, s[4:5]
	v_mbcnt_hi_u32_b32 v1, -1, v18
	v_mov_b32_dpp v20, v16 row_shr:1 row_mask:0xf bank_mask:0xf
	v_mov_b32_dpp v21, v10 row_shr:1 row_mask:0xf bank_mask:0xf
	v_cmp_eq_u32_e64 s[4:5], 0, v10
	v_and_b32_e32 v22, 1, v10
	v_and_b32_e32 v18, 15, v1
	v_cndmask_b32_e64 v20, 0, v20, s[4:5]
	v_and_b32_e32 v21, 1, v21
	v_cmp_eq_u32_e64 s[4:5], 1, v22
	v_cndmask_b32_e64 v21, v21, 1, s[4:5]
	v_cmp_eq_u32_e64 s[4:5], 0, v18
	v_cndmask_b32_e64 v10, v21, v10, s[4:5]
	v_and_b32_e32 v23, 1, v10
	v_cmp_eq_u32_e64 s[30:31], 1, v23
	v_mov_b32_dpp v22, v10 row_shr:2 row_mask:0xf bank_mask:0xf
	v_and_b32_e32 v22, 1, v22
	v_cndmask_b32_e64 v22, v22, 1, s[30:31]
	v_cmp_lt_u32_e64 s[30:31], 1, v18
	v_cndmask_b32_e64 v20, v20, 0, s[4:5]
	v_cmp_eq_u32_e64 s[4:5], 0, v10
	v_cndmask_b32_e64 v10, v10, v22, s[30:31]
	v_add_u32_e32 v20, v16, v20
	v_and_b32_e32 v23, 1, v10
	v_mov_b32_dpp v22, v10 row_shr:4 row_mask:0xf bank_mask:0xf
	v_mov_b32_dpp v21, v20 row_shr:2 row_mask:0xf bank_mask:0xf
	s_and_b64 s[4:5], s[30:31], s[4:5]
	v_and_b32_e32 v22, 1, v22
	v_cmp_eq_u32_e64 s[30:31], 1, v23
	v_cndmask_b32_e64 v21, 0, v21, s[4:5]
	v_cndmask_b32_e64 v22, v22, 1, s[30:31]
	v_cmp_lt_u32_e64 s[30:31], 3, v18
	v_add_u32_e32 v20, v20, v21
	v_cmp_eq_u32_e64 s[4:5], 0, v10
	v_cndmask_b32_e64 v10, v10, v22, s[30:31]
	v_mov_b32_dpp v21, v20 row_shr:4 row_mask:0xf bank_mask:0xf
	s_and_b64 s[4:5], s[30:31], s[4:5]
	v_mov_b32_dpp v22, v10 row_shr:8 row_mask:0xf bank_mask:0xf
	v_and_b32_e32 v23, 1, v10
	v_cndmask_b32_e64 v21, 0, v21, s[4:5]
	v_and_b32_e32 v22, 1, v22
	v_cmp_eq_u32_e64 s[30:31], 1, v23
	v_add_u32_e32 v20, v20, v21
	v_cmp_eq_u32_e64 s[4:5], 0, v10
	v_cndmask_b32_e64 v22, v22, 1, s[30:31]
	v_cmp_lt_u32_e64 s[30:31], 7, v18
	v_mov_b32_dpp v21, v20 row_shr:8 row_mask:0xf bank_mask:0xf
	s_and_b64 s[4:5], s[30:31], s[4:5]
	v_cndmask_b32_e64 v18, 0, v21, s[4:5]
	v_cndmask_b32_e64 v10, v10, v22, s[30:31]
	v_add_u32_e32 v18, v20, v18
	v_cmp_eq_u32_e64 s[4:5], 0, v10
	v_mov_b32_dpp v21, v10 row_bcast:15 row_mask:0xf bank_mask:0xf
	v_mov_b32_dpp v20, v18 row_bcast:15 row_mask:0xf bank_mask:0xf
	v_and_b32_e32 v24, 1, v10
	v_and_b32_e32 v23, 16, v1
	v_cndmask_b32_e64 v20, 0, v20, s[4:5]
	v_and_b32_e32 v21, 1, v21
	v_cmp_eq_u32_e64 s[4:5], 1, v24
	v_bfe_i32 v22, v1, 4, 1
	v_cndmask_b32_e64 v21, v21, 1, s[4:5]
	v_cmp_eq_u32_e64 s[4:5], 0, v23
	v_cndmask_b32_e64 v10, v21, v10, s[4:5]
	v_and_b32_e32 v20, v22, v20
	v_add_u32_e32 v18, v18, v20
	v_and_b32_e32 v22, 1, v10
	v_mov_b32_dpp v20, v10 row_bcast:31 row_mask:0xf bank_mask:0xf
	v_and_b32_e32 v20, 1, v20
	v_cmp_eq_u32_e64 s[30:31], 1, v22
	v_cmp_eq_u32_e64 s[4:5], 0, v10
	v_cndmask_b32_e64 v20, v20, 1, s[30:31]
	v_cmp_lt_u32_e64 s[30:31], 31, v1
	v_mov_b32_dpp v21, v18 row_bcast:31 row_mask:0xf bank_mask:0xf
	s_and_b64 s[4:5], s[30:31], s[4:5]
	v_cndmask_b32_e64 v20, v10, v20, s[30:31]
	v_cndmask_b32_e64 v10, 0, v21, s[4:5]
	v_add_u32_e32 v10, v18, v10
	v_cmp_eq_u32_e64 s[4:5], v0, v17
	s_and_saveexec_b64 s[30:31], s[4:5]
	s_cbranch_execz .LBB41_265
; %bb.264:
	v_lshlrev_b32_e32 v17, 3, v19
	ds_write_b32 v17, v10
	ds_write_b8 v17, v20 offset:4
.LBB41_265:
	s_or_b64 exec, exec, s[30:31]
	v_cmp_gt_u32_e64 s[4:5], 4, v0
	s_waitcnt lgkmcnt(0)
	s_barrier
	s_and_saveexec_b64 s[30:31], s[4:5]
	s_cbranch_execz .LBB41_269
; %bb.266:
	v_lshlrev_b32_e32 v21, 3, v0
	ds_read_b64 v[17:18], v21
	v_and_b32_e32 v22, 3, v1
	v_cmp_ne_u32_e64 s[4:5], 0, v22
	s_waitcnt lgkmcnt(0)
	v_mov_b32_dpp v23, v17 row_shr:1 row_mask:0xf bank_mask:0xf
	v_mov_b32_dpp v25, v18 row_shr:1 row_mask:0xf bank_mask:0xf
	v_mov_b32_e32 v24, v18
	s_and_saveexec_b64 s[34:35], s[4:5]
	s_cbranch_execz .LBB41_268
; %bb.267:
	v_and_b32_e32 v24, 1, v18
	v_and_b32_e32 v25, 1, v25
	v_cmp_eq_u32_e64 s[4:5], 1, v24
	v_mov_b32_e32 v24, 0
	v_cndmask_b32_e64 v25, v25, 1, s[4:5]
	v_cmp_eq_u16_sdwa s[4:5], v18, v24 src0_sel:BYTE_0 src1_sel:DWORD
	v_cndmask_b32_e64 v23, 0, v23, s[4:5]
	v_add_u32_e32 v17, v23, v17
	v_and_b32_e32 v23, 0xffff, v25
	s_movk_i32 s4, 0xff00
	v_and_or_b32 v24, v18, s4, v23
	v_mov_b32_e32 v18, v25
.LBB41_268:
	s_or_b64 exec, exec, s[34:35]
	v_mov_b32_dpp v24, v24 row_shr:2 row_mask:0xf bank_mask:0xf
	v_and_b32_e32 v25, 1, v18
	v_and_b32_e32 v24, 1, v24
	v_cmp_eq_u32_e64 s[4:5], 1, v25
	v_mov_b32_e32 v25, 0
	v_cndmask_b32_e64 v24, v24, 1, s[4:5]
	v_cmp_eq_u16_sdwa s[34:35], v18, v25 src0_sel:BYTE_0 src1_sel:DWORD
	v_cmp_lt_u32_e64 s[4:5], 1, v22
	v_mov_b32_dpp v23, v17 row_shr:2 row_mask:0xf bank_mask:0xf
	v_cndmask_b32_e64 v18, v18, v24, s[4:5]
	s_and_b64 s[4:5], s[4:5], s[34:35]
	v_cndmask_b32_e64 v22, 0, v23, s[4:5]
	v_add_u32_e32 v17, v22, v17
	ds_write_b32 v21, v17
	ds_write_b8 v21, v18 offset:4
.LBB41_269:
	s_or_b64 exec, exec, s[30:31]
	v_cmp_lt_u32_e64 s[4:5], 63, v0
	v_mov_b32_e32 v17, 0
	s_waitcnt lgkmcnt(0)
	s_barrier
	s_and_saveexec_b64 s[30:31], s[4:5]
	s_cbranch_execz .LBB41_271
; %bb.270:
	v_lshl_add_u32 v17, v19, 3, -8
	ds_read_b32 v17, v17
	v_cmp_eq_u32_e64 s[4:5], 0, v20
	s_waitcnt lgkmcnt(0)
	v_cndmask_b32_e64 v18, 0, v17, s[4:5]
	v_add_u32_e32 v10, v18, v10
.LBB41_271:
	s_or_b64 exec, exec, s[30:31]
	v_add_u32_e32 v18, -1, v1
	v_and_b32_e32 v19, 64, v1
	v_cmp_lt_i32_e64 s[4:5], v18, v19
	v_cndmask_b32_e64 v18, v18, v1, s[4:5]
	v_lshlrev_b32_e32 v18, 2, v18
	ds_bpermute_b32 v10, v18, v10
	s_and_saveexec_b64 s[30:31], s[36:37]
	s_cbranch_execz .LBB41_273
; %bb.272:
	v_and_b32_e32 v3, 0xff, v30
	v_mov_b32_e32 v2, 0
	v_cmp_eq_u32_e64 s[4:5], 0, v1
	s_waitcnt lgkmcnt(0)
	v_cndmask_b32_e64 v1, v10, v17, s[4:5]
	v_cmp_eq_u64_e64 s[4:5], 0, v[2:3]
	;;#ASMSTART
	;;#ASMEND
	v_cndmask_b32_e64 v1, 0, v1, s[4:5]
	v_add_u32_e32 v29, v1, v29
	v_cndmask_b32_e32 v1, 0, v29, vcc
	v_add_u32_e32 v2, v1, v53
	v_cndmask_b32_e64 v1, 0, v2, s[6:7]
	v_add_u32_e32 v5, v1, v51
	v_cndmask_b32_e64 v1, 0, v5, s[8:9]
	;; [unrolled: 2-line block ×12, first 2 shown]
	v_add_u32_e32 v16, v1, v9
.LBB41_273:
	s_or_b64 exec, exec, s[30:31]
	s_and_saveexec_b64 s[4:5], s[0:1]
	s_cbranch_execz .LBB41_275
; %bb.274:
	v_mov_b32_e32 v20, 0
	ds_read_b32 v17, v20 offset:24
	ds_read_u8 v18, v20 offset:28
	s_add_u32 s0, s56, 0x400
	s_addc_u32 s1, s57, 0
	s_waitcnt lgkmcnt(2)
	v_mov_b32_e32 v10, s1
	v_mov_b32_e32 v19, 2
	;; [unrolled: 1-line block ×3, first 2 shown]
	s_waitcnt lgkmcnt(0)
	;;#ASMSTART
	global_store_dwordx4 v[9:10], v[17:20] off	
s_waitcnt vmcnt(0)
	;;#ASMEND
.LBB41_275:
	s_or_b64 exec, exec, s[4:5]
	v_mov_b32_e32 v1, v29
.LBB41_276:
	s_add_u32 s0, s38, s48
	s_addc_u32 s1, s39, s49
	s_add_u32 s22, s0, s44
	s_addc_u32 s23, s1, s45
	s_and_b64 vcc, exec, s[2:3]
	s_cbranch_vccz .LBB41_324
; %bb.277:
	s_add_i32 s33, s33, s58
	v_mul_u32_u24_e32 v9, 14, v0
	v_cmp_gt_u32_e32 vcc, s33, v9
	s_and_saveexec_b64 s[0:1], vcc
	s_cbranch_execz .LBB41_297
; %bb.278:
	s_waitcnt lgkmcnt(0)
	v_or_b32_e32 v10, 1, v9
	v_cmp_gt_u32_e32 vcc, s33, v10
	s_and_saveexec_b64 s[2:3], vcc
	s_cbranch_execz .LBB41_296
; %bb.279:
	v_add_u32_e32 v10, 2, v9
	v_cmp_gt_u32_e32 vcc, s33, v10
	s_and_saveexec_b64 s[4:5], vcc
	s_cbranch_execz .LBB41_295
; %bb.280:
	v_add_u32_e32 v10, 3, v9
	;; [unrolled: 5-line block ×8, first 2 shown]
	v_cmp_gt_u32_e32 vcc, s33, v10
	s_and_saveexec_b64 s[18:19], vcc
; %bb.287:
	v_add_u32_e32 v10, 10, v9
	v_cmp_gt_u32_e32 vcc, s33, v10
	s_and_saveexec_b64 s[20:21], vcc
	s_or_b64 exec, exec, s[20:21]
; %bb.288:
	s_or_b64 exec, exec, s[18:19]
.LBB41_289:
	s_or_b64 exec, exec, s[16:17]
.LBB41_290:
	s_or_b64 exec, exec, s[14:15]
.LBB41_291:
	s_or_b64 exec, exec, s[12:13]
.LBB41_292:
	s_or_b64 exec, exec, s[10:11]
.LBB41_293:
	s_or_b64 exec, exec, s[8:9]
.LBB41_294:
	s_or_b64 exec, exec, s[6:7]
.LBB41_295:
	s_or_b64 exec, exec, s[4:5]
.LBB41_296:
	s_or_b64 exec, exec, s[2:3]
.LBB41_297:
	s_or_b64 exec, exec, s[0:1]
	s_waitcnt lgkmcnt(0)
	v_lshlrev_b32_e32 v10, 2, v9
	s_movk_i32 s0, 0xffcc
	v_mad_i32_i24 v9, v0, s0, v10
	s_barrier
	ds_write2_b64 v10, v[1:2], v[5:6] offset1:1
	ds_write2_b64 v10, v[3:4], v[7:8] offset0:2 offset1:3
	ds_write2_b64 v10, v[11:12], v[13:14] offset0:4 offset1:5
	ds_write_b64 v10, v[15:16] offset:48
	s_waitcnt lgkmcnt(0)
	s_barrier
	ds_read2st64_b32 v[29:30], v9 offset0:4 offset1:8
	ds_read2st64_b32 v[27:28], v9 offset0:12 offset1:16
	;; [unrolled: 1-line block ×6, first 2 shown]
	ds_read_b32 v9, v9 offset:13312
	v_lshlrev_b32_e32 v19, 2, v0
	v_mov_b32_e32 v20, s23
	v_add_co_u32_e32 v19, vcc, s22, v19
	v_addc_co_u32_e32 v20, vcc, 0, v20, vcc
	v_cmp_gt_u32_e32 vcc, s33, v0
	s_and_saveexec_b64 s[0:1], vcc
	s_cbranch_execz .LBB41_299
; %bb.298:
	v_mul_i32_i24_e32 v31, 0xffffffcc, v0
	v_add_u32_e32 v10, v10, v31
	ds_read_b32 v10, v10
	s_waitcnt lgkmcnt(0)
	flat_store_dword v[19:20], v10
.LBB41_299:
	s_or_b64 exec, exec, s[0:1]
	v_or_b32_e32 v10, 0x100, v0
	v_cmp_gt_u32_e32 vcc, s33, v10
	s_and_saveexec_b64 s[0:1], vcc
	s_cbranch_execz .LBB41_301
; %bb.300:
	s_waitcnt lgkmcnt(0)
	flat_store_dword v[19:20], v29 offset:1024
.LBB41_301:
	s_or_b64 exec, exec, s[0:1]
	v_or_b32_e32 v10, 0x200, v0
	v_cmp_gt_u32_e32 vcc, s33, v10
	s_and_saveexec_b64 s[0:1], vcc
	s_cbranch_execz .LBB41_303
; %bb.302:
	s_waitcnt lgkmcnt(0)
	flat_store_dword v[19:20], v30 offset:2048
.LBB41_303:
	;; [unrolled: 9-line block ×3, first 2 shown]
	s_or_b64 exec, exec, s[0:1]
	v_or_b32_e32 v10, 0x400, v0
	v_cmp_gt_u32_e32 vcc, s33, v10
	s_and_saveexec_b64 s[0:1], vcc
	s_cbranch_execz .LBB41_307
; %bb.306:
	s_waitcnt lgkmcnt(0)
	v_add_co_u32_e32 v29, vcc, 0x1000, v19
	v_addc_co_u32_e32 v30, vcc, 0, v20, vcc
	flat_store_dword v[29:30], v28
.LBB41_307:
	s_or_b64 exec, exec, s[0:1]
	v_or_b32_e32 v10, 0x500, v0
	v_cmp_gt_u32_e32 vcc, s33, v10
	s_and_saveexec_b64 s[0:1], vcc
	s_cbranch_execz .LBB41_309
; %bb.308:
	s_waitcnt lgkmcnt(0)
	v_add_co_u32_e32 v27, vcc, 0x1000, v19
	v_addc_co_u32_e32 v28, vcc, 0, v20, vcc
	flat_store_dword v[27:28], v25 offset:1024
.LBB41_309:
	s_or_b64 exec, exec, s[0:1]
	v_or_b32_e32 v10, 0x600, v0
	v_cmp_gt_u32_e32 vcc, s33, v10
	s_and_saveexec_b64 s[0:1], vcc
	s_cbranch_execz .LBB41_311
; %bb.310:
	s_waitcnt lgkmcnt(0)
	v_add_co_u32_e32 v27, vcc, 0x1000, v19
	v_addc_co_u32_e32 v28, vcc, 0, v20, vcc
	flat_store_dword v[27:28], v26 offset:2048
.LBB41_311:
	;; [unrolled: 11-line block ×3, first 2 shown]
	s_or_b64 exec, exec, s[0:1]
	v_or_b32_e32 v10, 0x800, v0
	v_cmp_gt_u32_e32 vcc, s33, v10
	s_and_saveexec_b64 s[0:1], vcc
	s_cbranch_execz .LBB41_315
; %bb.314:
	s_waitcnt lgkmcnt(0)
	v_add_co_u32_e32 v25, vcc, 0x2000, v19
	v_addc_co_u32_e32 v26, vcc, 0, v20, vcc
	flat_store_dword v[25:26], v24
.LBB41_315:
	s_or_b64 exec, exec, s[0:1]
	v_or_b32_e32 v10, 0x900, v0
	v_cmp_gt_u32_e32 vcc, s33, v10
	s_and_saveexec_b64 s[0:1], vcc
	s_cbranch_execz .LBB41_317
; %bb.316:
	s_waitcnt lgkmcnt(0)
	v_add_co_u32_e32 v23, vcc, 0x2000, v19
	v_addc_co_u32_e32 v24, vcc, 0, v20, vcc
	flat_store_dword v[23:24], v21 offset:1024
.LBB41_317:
	s_or_b64 exec, exec, s[0:1]
	v_or_b32_e32 v10, 0xa00, v0
	v_cmp_gt_u32_e32 vcc, s33, v10
	s_and_saveexec_b64 s[0:1], vcc
	s_cbranch_execz .LBB41_319
; %bb.318:
	s_waitcnt lgkmcnt(0)
	v_add_co_u32_e32 v23, vcc, 0x2000, v19
	v_addc_co_u32_e32 v24, vcc, 0, v20, vcc
	flat_store_dword v[23:24], v22 offset:2048
.LBB41_319:
	;; [unrolled: 11-line block ×3, first 2 shown]
	s_or_b64 exec, exec, s[0:1]
	v_or_b32_e32 v10, 0xc00, v0
	v_cmp_gt_u32_e32 vcc, s33, v10
	s_and_saveexec_b64 s[0:1], vcc
	s_cbranch_execz .LBB41_323
; %bb.322:
	v_add_co_u32_e32 v19, vcc, 0x3000, v19
	v_addc_co_u32_e32 v20, vcc, 0, v20, vcc
	s_waitcnt lgkmcnt(0)
	flat_store_dword v[19:20], v18
.LBB41_323:
	s_or_b64 exec, exec, s[0:1]
	v_or_b32_e32 v10, 0xd00, v0
	v_cmp_gt_u32_e64 s[0:1], s33, v10
	s_branch .LBB41_326
.LBB41_324:
	s_mov_b64 s[0:1], 0
                                        ; implicit-def: $vgpr9
	s_cbranch_execz .LBB41_326
; %bb.325:
	s_waitcnt lgkmcnt(0)
	v_mul_u32_u24_e32 v9, 56, v0
	s_waitcnt vmcnt(0)
	s_barrier
	ds_write2_b64 v9, v[1:2], v[5:6] offset1:1
	ds_write2_b64 v9, v[3:4], v[7:8] offset0:2 offset1:3
	ds_write2_b64 v9, v[11:12], v[13:14] offset0:4 offset1:5
	ds_write_b64 v9, v[15:16] offset:48
	v_mul_i32_i24_e32 v1, 0xffffffcc, v0
	v_mad_u32_u24 v7, v0, 56, v1
	s_waitcnt lgkmcnt(0)
	s_barrier
	ds_read2st64_b32 v[1:2], v7 offset1:4
	ds_read2st64_b32 v[3:4], v7 offset0:8 offset1:12
	ds_read2st64_b32 v[5:6], v7 offset0:16 offset1:20
	;; [unrolled: 1-line block ×6, first 2 shown]
	v_lshlrev_b32_e32 v7, 2, v0
	v_mov_b32_e32 v17, s23
	v_add_co_u32_e32 v16, vcc, s22, v7
	v_addc_co_u32_e32 v17, vcc, 0, v17, vcc
	s_movk_i32 s2, 0x1000
	s_waitcnt lgkmcnt(6)
	flat_store_dword v[16:17], v1
	flat_store_dword v[16:17], v2 offset:1024
	s_waitcnt lgkmcnt(0)
	flat_store_dword v[16:17], v3 offset:2048
	flat_store_dword v[16:17], v4 offset:3072
	v_add_co_u32_e32 v1, vcc, s2, v16
	v_addc_co_u32_e32 v2, vcc, 0, v17, vcc
	flat_store_dword v[1:2], v5
	flat_store_dword v[1:2], v6 offset:1024
	flat_store_dword v[1:2], v10 offset:2048
	;; [unrolled: 1-line block ×3, first 2 shown]
	v_add_co_u32_e32 v1, vcc, 0x2000, v16
	v_addc_co_u32_e32 v2, vcc, 0, v17, vcc
	flat_store_dword v[1:2], v12
	flat_store_dword v[1:2], v13 offset:1024
	flat_store_dword v[1:2], v14 offset:2048
	;; [unrolled: 1-line block ×3, first 2 shown]
	v_add_co_u32_e32 v1, vcc, 0x3000, v16
	v_addc_co_u32_e32 v2, vcc, 0, v17, vcc
	s_or_b64 s[0:1], s[0:1], exec
	flat_store_dword v[1:2], v8
.LBB41_326:
	s_and_saveexec_b64 s[2:3], s[0:1]
	s_cbranch_execnz .LBB41_328
; %bb.327:
	s_endpgm
.LBB41_328:
	v_lshlrev_b32_e32 v0, 2, v0
	v_mov_b32_e32 v1, s23
	v_add_co_u32_e32 v0, vcc, s22, v0
	v_addc_co_u32_e32 v1, vcc, 0, v1, vcc
	v_add_co_u32_e32 v0, vcc, 0x3000, v0
	v_addc_co_u32_e32 v1, vcc, 0, v1, vcc
	s_waitcnt lgkmcnt(0)
	flat_store_dword v[0:1], v9 offset:1024
	s_endpgm
.LBB41_329:
                                        ; implicit-def: $sgpr8_sgpr9
	s_branch .LBB41_225
.LBB41_330:
                                        ; implicit-def: $sgpr40_sgpr41
	s_andn2_b64 vcc, exec, s[64:65]
	s_cbranch_vccz .LBB41_100
	s_branch .LBB41_101
.LBB41_331:
                                        ; implicit-def: $sgpr8_sgpr9
	s_andn2_b64 vcc, exec, s[6:7]
	s_cbranch_vccz .LBB41_221
	s_branch .LBB41_222
	.section	.rodata,"a",@progbits
	.p2align	6, 0x0
	.amdhsa_kernel _ZN7rocprim17ROCPRIM_400000_NS6detail17trampoline_kernelINS0_14default_configENS1_27scan_by_key_config_selectorImiEEZZNS1_16scan_by_key_implILNS1_25lookback_scan_determinismE0ELb0ES3_N6thrust23THRUST_200600_302600_NS18transform_iteratorI9row_indexNS9_17counting_iteratorImNS9_11use_defaultESD_SD_EESD_SD_EENS9_6detail15normal_iteratorINS9_10device_ptrIiEEEESK_iNS9_4plusIvEENS9_8equal_toIvEEiEE10hipError_tPvRmT2_T3_T4_T5_mT6_T7_P12ihipStream_tbENKUlT_T0_E_clISt17integral_constantIbLb0EES14_IbLb1EEEEDaS10_S11_EUlS10_E_NS1_11comp_targetILNS1_3genE2ELNS1_11target_archE906ELNS1_3gpuE6ELNS1_3repE0EEENS1_30default_config_static_selectorELNS0_4arch9wavefront6targetE1EEEvT1_
		.amdhsa_group_segment_fixed_size 32768
		.amdhsa_private_segment_fixed_size 0
		.amdhsa_kernarg_size 120
		.amdhsa_user_sgpr_count 6
		.amdhsa_user_sgpr_private_segment_buffer 1
		.amdhsa_user_sgpr_dispatch_ptr 0
		.amdhsa_user_sgpr_queue_ptr 0
		.amdhsa_user_sgpr_kernarg_segment_ptr 1
		.amdhsa_user_sgpr_dispatch_id 0
		.amdhsa_user_sgpr_flat_scratch_init 0
		.amdhsa_user_sgpr_private_segment_size 0
		.amdhsa_uses_dynamic_stack 0
		.amdhsa_system_sgpr_private_segment_wavefront_offset 0
		.amdhsa_system_sgpr_workgroup_id_x 1
		.amdhsa_system_sgpr_workgroup_id_y 0
		.amdhsa_system_sgpr_workgroup_id_z 0
		.amdhsa_system_sgpr_workgroup_info 0
		.amdhsa_system_vgpr_workitem_id 0
		.amdhsa_next_free_vgpr 85
		.amdhsa_next_free_sgpr 98
		.amdhsa_reserve_vcc 1
		.amdhsa_reserve_flat_scratch 0
		.amdhsa_float_round_mode_32 0
		.amdhsa_float_round_mode_16_64 0
		.amdhsa_float_denorm_mode_32 3
		.amdhsa_float_denorm_mode_16_64 3
		.amdhsa_dx10_clamp 1
		.amdhsa_ieee_mode 1
		.amdhsa_fp16_overflow 0
		.amdhsa_exception_fp_ieee_invalid_op 0
		.amdhsa_exception_fp_denorm_src 0
		.amdhsa_exception_fp_ieee_div_zero 0
		.amdhsa_exception_fp_ieee_overflow 0
		.amdhsa_exception_fp_ieee_underflow 0
		.amdhsa_exception_fp_ieee_inexact 0
		.amdhsa_exception_int_div_zero 0
	.end_amdhsa_kernel
	.section	.text._ZN7rocprim17ROCPRIM_400000_NS6detail17trampoline_kernelINS0_14default_configENS1_27scan_by_key_config_selectorImiEEZZNS1_16scan_by_key_implILNS1_25lookback_scan_determinismE0ELb0ES3_N6thrust23THRUST_200600_302600_NS18transform_iteratorI9row_indexNS9_17counting_iteratorImNS9_11use_defaultESD_SD_EESD_SD_EENS9_6detail15normal_iteratorINS9_10device_ptrIiEEEESK_iNS9_4plusIvEENS9_8equal_toIvEEiEE10hipError_tPvRmT2_T3_T4_T5_mT6_T7_P12ihipStream_tbENKUlT_T0_E_clISt17integral_constantIbLb0EES14_IbLb1EEEEDaS10_S11_EUlS10_E_NS1_11comp_targetILNS1_3genE2ELNS1_11target_archE906ELNS1_3gpuE6ELNS1_3repE0EEENS1_30default_config_static_selectorELNS0_4arch9wavefront6targetE1EEEvT1_,"axG",@progbits,_ZN7rocprim17ROCPRIM_400000_NS6detail17trampoline_kernelINS0_14default_configENS1_27scan_by_key_config_selectorImiEEZZNS1_16scan_by_key_implILNS1_25lookback_scan_determinismE0ELb0ES3_N6thrust23THRUST_200600_302600_NS18transform_iteratorI9row_indexNS9_17counting_iteratorImNS9_11use_defaultESD_SD_EESD_SD_EENS9_6detail15normal_iteratorINS9_10device_ptrIiEEEESK_iNS9_4plusIvEENS9_8equal_toIvEEiEE10hipError_tPvRmT2_T3_T4_T5_mT6_T7_P12ihipStream_tbENKUlT_T0_E_clISt17integral_constantIbLb0EES14_IbLb1EEEEDaS10_S11_EUlS10_E_NS1_11comp_targetILNS1_3genE2ELNS1_11target_archE906ELNS1_3gpuE6ELNS1_3repE0EEENS1_30default_config_static_selectorELNS0_4arch9wavefront6targetE1EEEvT1_,comdat
.Lfunc_end41:
	.size	_ZN7rocprim17ROCPRIM_400000_NS6detail17trampoline_kernelINS0_14default_configENS1_27scan_by_key_config_selectorImiEEZZNS1_16scan_by_key_implILNS1_25lookback_scan_determinismE0ELb0ES3_N6thrust23THRUST_200600_302600_NS18transform_iteratorI9row_indexNS9_17counting_iteratorImNS9_11use_defaultESD_SD_EESD_SD_EENS9_6detail15normal_iteratorINS9_10device_ptrIiEEEESK_iNS9_4plusIvEENS9_8equal_toIvEEiEE10hipError_tPvRmT2_T3_T4_T5_mT6_T7_P12ihipStream_tbENKUlT_T0_E_clISt17integral_constantIbLb0EES14_IbLb1EEEEDaS10_S11_EUlS10_E_NS1_11comp_targetILNS1_3genE2ELNS1_11target_archE906ELNS1_3gpuE6ELNS1_3repE0EEENS1_30default_config_static_selectorELNS0_4arch9wavefront6targetE1EEEvT1_, .Lfunc_end41-_ZN7rocprim17ROCPRIM_400000_NS6detail17trampoline_kernelINS0_14default_configENS1_27scan_by_key_config_selectorImiEEZZNS1_16scan_by_key_implILNS1_25lookback_scan_determinismE0ELb0ES3_N6thrust23THRUST_200600_302600_NS18transform_iteratorI9row_indexNS9_17counting_iteratorImNS9_11use_defaultESD_SD_EESD_SD_EENS9_6detail15normal_iteratorINS9_10device_ptrIiEEEESK_iNS9_4plusIvEENS9_8equal_toIvEEiEE10hipError_tPvRmT2_T3_T4_T5_mT6_T7_P12ihipStream_tbENKUlT_T0_E_clISt17integral_constantIbLb0EES14_IbLb1EEEEDaS10_S11_EUlS10_E_NS1_11comp_targetILNS1_3genE2ELNS1_11target_archE906ELNS1_3gpuE6ELNS1_3repE0EEENS1_30default_config_static_selectorELNS0_4arch9wavefront6targetE1EEEvT1_
                                        ; -- End function
	.set _ZN7rocprim17ROCPRIM_400000_NS6detail17trampoline_kernelINS0_14default_configENS1_27scan_by_key_config_selectorImiEEZZNS1_16scan_by_key_implILNS1_25lookback_scan_determinismE0ELb0ES3_N6thrust23THRUST_200600_302600_NS18transform_iteratorI9row_indexNS9_17counting_iteratorImNS9_11use_defaultESD_SD_EESD_SD_EENS9_6detail15normal_iteratorINS9_10device_ptrIiEEEESK_iNS9_4plusIvEENS9_8equal_toIvEEiEE10hipError_tPvRmT2_T3_T4_T5_mT6_T7_P12ihipStream_tbENKUlT_T0_E_clISt17integral_constantIbLb0EES14_IbLb1EEEEDaS10_S11_EUlS10_E_NS1_11comp_targetILNS1_3genE2ELNS1_11target_archE906ELNS1_3gpuE6ELNS1_3repE0EEENS1_30default_config_static_selectorELNS0_4arch9wavefront6targetE1EEEvT1_.num_vgpr, 82
	.set _ZN7rocprim17ROCPRIM_400000_NS6detail17trampoline_kernelINS0_14default_configENS1_27scan_by_key_config_selectorImiEEZZNS1_16scan_by_key_implILNS1_25lookback_scan_determinismE0ELb0ES3_N6thrust23THRUST_200600_302600_NS18transform_iteratorI9row_indexNS9_17counting_iteratorImNS9_11use_defaultESD_SD_EESD_SD_EENS9_6detail15normal_iteratorINS9_10device_ptrIiEEEESK_iNS9_4plusIvEENS9_8equal_toIvEEiEE10hipError_tPvRmT2_T3_T4_T5_mT6_T7_P12ihipStream_tbENKUlT_T0_E_clISt17integral_constantIbLb0EES14_IbLb1EEEEDaS10_S11_EUlS10_E_NS1_11comp_targetILNS1_3genE2ELNS1_11target_archE906ELNS1_3gpuE6ELNS1_3repE0EEENS1_30default_config_static_selectorELNS0_4arch9wavefront6targetE1EEEvT1_.num_agpr, 0
	.set _ZN7rocprim17ROCPRIM_400000_NS6detail17trampoline_kernelINS0_14default_configENS1_27scan_by_key_config_selectorImiEEZZNS1_16scan_by_key_implILNS1_25lookback_scan_determinismE0ELb0ES3_N6thrust23THRUST_200600_302600_NS18transform_iteratorI9row_indexNS9_17counting_iteratorImNS9_11use_defaultESD_SD_EESD_SD_EENS9_6detail15normal_iteratorINS9_10device_ptrIiEEEESK_iNS9_4plusIvEENS9_8equal_toIvEEiEE10hipError_tPvRmT2_T3_T4_T5_mT6_T7_P12ihipStream_tbENKUlT_T0_E_clISt17integral_constantIbLb0EES14_IbLb1EEEEDaS10_S11_EUlS10_E_NS1_11comp_targetILNS1_3genE2ELNS1_11target_archE906ELNS1_3gpuE6ELNS1_3repE0EEENS1_30default_config_static_selectorELNS0_4arch9wavefront6targetE1EEEvT1_.numbered_sgpr, 79
	.set _ZN7rocprim17ROCPRIM_400000_NS6detail17trampoline_kernelINS0_14default_configENS1_27scan_by_key_config_selectorImiEEZZNS1_16scan_by_key_implILNS1_25lookback_scan_determinismE0ELb0ES3_N6thrust23THRUST_200600_302600_NS18transform_iteratorI9row_indexNS9_17counting_iteratorImNS9_11use_defaultESD_SD_EESD_SD_EENS9_6detail15normal_iteratorINS9_10device_ptrIiEEEESK_iNS9_4plusIvEENS9_8equal_toIvEEiEE10hipError_tPvRmT2_T3_T4_T5_mT6_T7_P12ihipStream_tbENKUlT_T0_E_clISt17integral_constantIbLb0EES14_IbLb1EEEEDaS10_S11_EUlS10_E_NS1_11comp_targetILNS1_3genE2ELNS1_11target_archE906ELNS1_3gpuE6ELNS1_3repE0EEENS1_30default_config_static_selectorELNS0_4arch9wavefront6targetE1EEEvT1_.num_named_barrier, 0
	.set _ZN7rocprim17ROCPRIM_400000_NS6detail17trampoline_kernelINS0_14default_configENS1_27scan_by_key_config_selectorImiEEZZNS1_16scan_by_key_implILNS1_25lookback_scan_determinismE0ELb0ES3_N6thrust23THRUST_200600_302600_NS18transform_iteratorI9row_indexNS9_17counting_iteratorImNS9_11use_defaultESD_SD_EESD_SD_EENS9_6detail15normal_iteratorINS9_10device_ptrIiEEEESK_iNS9_4plusIvEENS9_8equal_toIvEEiEE10hipError_tPvRmT2_T3_T4_T5_mT6_T7_P12ihipStream_tbENKUlT_T0_E_clISt17integral_constantIbLb0EES14_IbLb1EEEEDaS10_S11_EUlS10_E_NS1_11comp_targetILNS1_3genE2ELNS1_11target_archE906ELNS1_3gpuE6ELNS1_3repE0EEENS1_30default_config_static_selectorELNS0_4arch9wavefront6targetE1EEEvT1_.private_seg_size, 0
	.set _ZN7rocprim17ROCPRIM_400000_NS6detail17trampoline_kernelINS0_14default_configENS1_27scan_by_key_config_selectorImiEEZZNS1_16scan_by_key_implILNS1_25lookback_scan_determinismE0ELb0ES3_N6thrust23THRUST_200600_302600_NS18transform_iteratorI9row_indexNS9_17counting_iteratorImNS9_11use_defaultESD_SD_EESD_SD_EENS9_6detail15normal_iteratorINS9_10device_ptrIiEEEESK_iNS9_4plusIvEENS9_8equal_toIvEEiEE10hipError_tPvRmT2_T3_T4_T5_mT6_T7_P12ihipStream_tbENKUlT_T0_E_clISt17integral_constantIbLb0EES14_IbLb1EEEEDaS10_S11_EUlS10_E_NS1_11comp_targetILNS1_3genE2ELNS1_11target_archE906ELNS1_3gpuE6ELNS1_3repE0EEENS1_30default_config_static_selectorELNS0_4arch9wavefront6targetE1EEEvT1_.uses_vcc, 1
	.set _ZN7rocprim17ROCPRIM_400000_NS6detail17trampoline_kernelINS0_14default_configENS1_27scan_by_key_config_selectorImiEEZZNS1_16scan_by_key_implILNS1_25lookback_scan_determinismE0ELb0ES3_N6thrust23THRUST_200600_302600_NS18transform_iteratorI9row_indexNS9_17counting_iteratorImNS9_11use_defaultESD_SD_EESD_SD_EENS9_6detail15normal_iteratorINS9_10device_ptrIiEEEESK_iNS9_4plusIvEENS9_8equal_toIvEEiEE10hipError_tPvRmT2_T3_T4_T5_mT6_T7_P12ihipStream_tbENKUlT_T0_E_clISt17integral_constantIbLb0EES14_IbLb1EEEEDaS10_S11_EUlS10_E_NS1_11comp_targetILNS1_3genE2ELNS1_11target_archE906ELNS1_3gpuE6ELNS1_3repE0EEENS1_30default_config_static_selectorELNS0_4arch9wavefront6targetE1EEEvT1_.uses_flat_scratch, 0
	.set _ZN7rocprim17ROCPRIM_400000_NS6detail17trampoline_kernelINS0_14default_configENS1_27scan_by_key_config_selectorImiEEZZNS1_16scan_by_key_implILNS1_25lookback_scan_determinismE0ELb0ES3_N6thrust23THRUST_200600_302600_NS18transform_iteratorI9row_indexNS9_17counting_iteratorImNS9_11use_defaultESD_SD_EESD_SD_EENS9_6detail15normal_iteratorINS9_10device_ptrIiEEEESK_iNS9_4plusIvEENS9_8equal_toIvEEiEE10hipError_tPvRmT2_T3_T4_T5_mT6_T7_P12ihipStream_tbENKUlT_T0_E_clISt17integral_constantIbLb0EES14_IbLb1EEEEDaS10_S11_EUlS10_E_NS1_11comp_targetILNS1_3genE2ELNS1_11target_archE906ELNS1_3gpuE6ELNS1_3repE0EEENS1_30default_config_static_selectorELNS0_4arch9wavefront6targetE1EEEvT1_.has_dyn_sized_stack, 0
	.set _ZN7rocprim17ROCPRIM_400000_NS6detail17trampoline_kernelINS0_14default_configENS1_27scan_by_key_config_selectorImiEEZZNS1_16scan_by_key_implILNS1_25lookback_scan_determinismE0ELb0ES3_N6thrust23THRUST_200600_302600_NS18transform_iteratorI9row_indexNS9_17counting_iteratorImNS9_11use_defaultESD_SD_EESD_SD_EENS9_6detail15normal_iteratorINS9_10device_ptrIiEEEESK_iNS9_4plusIvEENS9_8equal_toIvEEiEE10hipError_tPvRmT2_T3_T4_T5_mT6_T7_P12ihipStream_tbENKUlT_T0_E_clISt17integral_constantIbLb0EES14_IbLb1EEEEDaS10_S11_EUlS10_E_NS1_11comp_targetILNS1_3genE2ELNS1_11target_archE906ELNS1_3gpuE6ELNS1_3repE0EEENS1_30default_config_static_selectorELNS0_4arch9wavefront6targetE1EEEvT1_.has_recursion, 0
	.set _ZN7rocprim17ROCPRIM_400000_NS6detail17trampoline_kernelINS0_14default_configENS1_27scan_by_key_config_selectorImiEEZZNS1_16scan_by_key_implILNS1_25lookback_scan_determinismE0ELb0ES3_N6thrust23THRUST_200600_302600_NS18transform_iteratorI9row_indexNS9_17counting_iteratorImNS9_11use_defaultESD_SD_EESD_SD_EENS9_6detail15normal_iteratorINS9_10device_ptrIiEEEESK_iNS9_4plusIvEENS9_8equal_toIvEEiEE10hipError_tPvRmT2_T3_T4_T5_mT6_T7_P12ihipStream_tbENKUlT_T0_E_clISt17integral_constantIbLb0EES14_IbLb1EEEEDaS10_S11_EUlS10_E_NS1_11comp_targetILNS1_3genE2ELNS1_11target_archE906ELNS1_3gpuE6ELNS1_3repE0EEENS1_30default_config_static_selectorELNS0_4arch9wavefront6targetE1EEEvT1_.has_indirect_call, 0
	.section	.AMDGPU.csdata,"",@progbits
; Kernel info:
; codeLenInByte = 33276
; TotalNumSgprs: 83
; NumVgprs: 82
; ScratchSize: 0
; MemoryBound: 0
; FloatMode: 240
; IeeeMode: 1
; LDSByteSize: 32768 bytes/workgroup (compile time only)
; SGPRBlocks: 12
; VGPRBlocks: 21
; NumSGPRsForWavesPerEU: 102
; NumVGPRsForWavesPerEU: 85
; Occupancy: 2
; WaveLimiterHint : 1
; COMPUTE_PGM_RSRC2:SCRATCH_EN: 0
; COMPUTE_PGM_RSRC2:USER_SGPR: 6
; COMPUTE_PGM_RSRC2:TRAP_HANDLER: 0
; COMPUTE_PGM_RSRC2:TGID_X_EN: 1
; COMPUTE_PGM_RSRC2:TGID_Y_EN: 0
; COMPUTE_PGM_RSRC2:TGID_Z_EN: 0
; COMPUTE_PGM_RSRC2:TIDIG_COMP_CNT: 0
	.section	.text._ZN7rocprim17ROCPRIM_400000_NS6detail17trampoline_kernelINS0_14default_configENS1_27scan_by_key_config_selectorImiEEZZNS1_16scan_by_key_implILNS1_25lookback_scan_determinismE0ELb0ES3_N6thrust23THRUST_200600_302600_NS18transform_iteratorI9row_indexNS9_17counting_iteratorImNS9_11use_defaultESD_SD_EESD_SD_EENS9_6detail15normal_iteratorINS9_10device_ptrIiEEEESK_iNS9_4plusIvEENS9_8equal_toIvEEiEE10hipError_tPvRmT2_T3_T4_T5_mT6_T7_P12ihipStream_tbENKUlT_T0_E_clISt17integral_constantIbLb0EES14_IbLb1EEEEDaS10_S11_EUlS10_E_NS1_11comp_targetILNS1_3genE10ELNS1_11target_archE1200ELNS1_3gpuE4ELNS1_3repE0EEENS1_30default_config_static_selectorELNS0_4arch9wavefront6targetE1EEEvT1_,"axG",@progbits,_ZN7rocprim17ROCPRIM_400000_NS6detail17trampoline_kernelINS0_14default_configENS1_27scan_by_key_config_selectorImiEEZZNS1_16scan_by_key_implILNS1_25lookback_scan_determinismE0ELb0ES3_N6thrust23THRUST_200600_302600_NS18transform_iteratorI9row_indexNS9_17counting_iteratorImNS9_11use_defaultESD_SD_EESD_SD_EENS9_6detail15normal_iteratorINS9_10device_ptrIiEEEESK_iNS9_4plusIvEENS9_8equal_toIvEEiEE10hipError_tPvRmT2_T3_T4_T5_mT6_T7_P12ihipStream_tbENKUlT_T0_E_clISt17integral_constantIbLb0EES14_IbLb1EEEEDaS10_S11_EUlS10_E_NS1_11comp_targetILNS1_3genE10ELNS1_11target_archE1200ELNS1_3gpuE4ELNS1_3repE0EEENS1_30default_config_static_selectorELNS0_4arch9wavefront6targetE1EEEvT1_,comdat
	.protected	_ZN7rocprim17ROCPRIM_400000_NS6detail17trampoline_kernelINS0_14default_configENS1_27scan_by_key_config_selectorImiEEZZNS1_16scan_by_key_implILNS1_25lookback_scan_determinismE0ELb0ES3_N6thrust23THRUST_200600_302600_NS18transform_iteratorI9row_indexNS9_17counting_iteratorImNS9_11use_defaultESD_SD_EESD_SD_EENS9_6detail15normal_iteratorINS9_10device_ptrIiEEEESK_iNS9_4plusIvEENS9_8equal_toIvEEiEE10hipError_tPvRmT2_T3_T4_T5_mT6_T7_P12ihipStream_tbENKUlT_T0_E_clISt17integral_constantIbLb0EES14_IbLb1EEEEDaS10_S11_EUlS10_E_NS1_11comp_targetILNS1_3genE10ELNS1_11target_archE1200ELNS1_3gpuE4ELNS1_3repE0EEENS1_30default_config_static_selectorELNS0_4arch9wavefront6targetE1EEEvT1_ ; -- Begin function _ZN7rocprim17ROCPRIM_400000_NS6detail17trampoline_kernelINS0_14default_configENS1_27scan_by_key_config_selectorImiEEZZNS1_16scan_by_key_implILNS1_25lookback_scan_determinismE0ELb0ES3_N6thrust23THRUST_200600_302600_NS18transform_iteratorI9row_indexNS9_17counting_iteratorImNS9_11use_defaultESD_SD_EESD_SD_EENS9_6detail15normal_iteratorINS9_10device_ptrIiEEEESK_iNS9_4plusIvEENS9_8equal_toIvEEiEE10hipError_tPvRmT2_T3_T4_T5_mT6_T7_P12ihipStream_tbENKUlT_T0_E_clISt17integral_constantIbLb0EES14_IbLb1EEEEDaS10_S11_EUlS10_E_NS1_11comp_targetILNS1_3genE10ELNS1_11target_archE1200ELNS1_3gpuE4ELNS1_3repE0EEENS1_30default_config_static_selectorELNS0_4arch9wavefront6targetE1EEEvT1_
	.globl	_ZN7rocprim17ROCPRIM_400000_NS6detail17trampoline_kernelINS0_14default_configENS1_27scan_by_key_config_selectorImiEEZZNS1_16scan_by_key_implILNS1_25lookback_scan_determinismE0ELb0ES3_N6thrust23THRUST_200600_302600_NS18transform_iteratorI9row_indexNS9_17counting_iteratorImNS9_11use_defaultESD_SD_EESD_SD_EENS9_6detail15normal_iteratorINS9_10device_ptrIiEEEESK_iNS9_4plusIvEENS9_8equal_toIvEEiEE10hipError_tPvRmT2_T3_T4_T5_mT6_T7_P12ihipStream_tbENKUlT_T0_E_clISt17integral_constantIbLb0EES14_IbLb1EEEEDaS10_S11_EUlS10_E_NS1_11comp_targetILNS1_3genE10ELNS1_11target_archE1200ELNS1_3gpuE4ELNS1_3repE0EEENS1_30default_config_static_selectorELNS0_4arch9wavefront6targetE1EEEvT1_
	.p2align	8
	.type	_ZN7rocprim17ROCPRIM_400000_NS6detail17trampoline_kernelINS0_14default_configENS1_27scan_by_key_config_selectorImiEEZZNS1_16scan_by_key_implILNS1_25lookback_scan_determinismE0ELb0ES3_N6thrust23THRUST_200600_302600_NS18transform_iteratorI9row_indexNS9_17counting_iteratorImNS9_11use_defaultESD_SD_EESD_SD_EENS9_6detail15normal_iteratorINS9_10device_ptrIiEEEESK_iNS9_4plusIvEENS9_8equal_toIvEEiEE10hipError_tPvRmT2_T3_T4_T5_mT6_T7_P12ihipStream_tbENKUlT_T0_E_clISt17integral_constantIbLb0EES14_IbLb1EEEEDaS10_S11_EUlS10_E_NS1_11comp_targetILNS1_3genE10ELNS1_11target_archE1200ELNS1_3gpuE4ELNS1_3repE0EEENS1_30default_config_static_selectorELNS0_4arch9wavefront6targetE1EEEvT1_,@function
_ZN7rocprim17ROCPRIM_400000_NS6detail17trampoline_kernelINS0_14default_configENS1_27scan_by_key_config_selectorImiEEZZNS1_16scan_by_key_implILNS1_25lookback_scan_determinismE0ELb0ES3_N6thrust23THRUST_200600_302600_NS18transform_iteratorI9row_indexNS9_17counting_iteratorImNS9_11use_defaultESD_SD_EESD_SD_EENS9_6detail15normal_iteratorINS9_10device_ptrIiEEEESK_iNS9_4plusIvEENS9_8equal_toIvEEiEE10hipError_tPvRmT2_T3_T4_T5_mT6_T7_P12ihipStream_tbENKUlT_T0_E_clISt17integral_constantIbLb0EES14_IbLb1EEEEDaS10_S11_EUlS10_E_NS1_11comp_targetILNS1_3genE10ELNS1_11target_archE1200ELNS1_3gpuE4ELNS1_3repE0EEENS1_30default_config_static_selectorELNS0_4arch9wavefront6targetE1EEEvT1_: ; @_ZN7rocprim17ROCPRIM_400000_NS6detail17trampoline_kernelINS0_14default_configENS1_27scan_by_key_config_selectorImiEEZZNS1_16scan_by_key_implILNS1_25lookback_scan_determinismE0ELb0ES3_N6thrust23THRUST_200600_302600_NS18transform_iteratorI9row_indexNS9_17counting_iteratorImNS9_11use_defaultESD_SD_EESD_SD_EENS9_6detail15normal_iteratorINS9_10device_ptrIiEEEESK_iNS9_4plusIvEENS9_8equal_toIvEEiEE10hipError_tPvRmT2_T3_T4_T5_mT6_T7_P12ihipStream_tbENKUlT_T0_E_clISt17integral_constantIbLb0EES14_IbLb1EEEEDaS10_S11_EUlS10_E_NS1_11comp_targetILNS1_3genE10ELNS1_11target_archE1200ELNS1_3gpuE4ELNS1_3repE0EEENS1_30default_config_static_selectorELNS0_4arch9wavefront6targetE1EEEvT1_
; %bb.0:
	.section	.rodata,"a",@progbits
	.p2align	6, 0x0
	.amdhsa_kernel _ZN7rocprim17ROCPRIM_400000_NS6detail17trampoline_kernelINS0_14default_configENS1_27scan_by_key_config_selectorImiEEZZNS1_16scan_by_key_implILNS1_25lookback_scan_determinismE0ELb0ES3_N6thrust23THRUST_200600_302600_NS18transform_iteratorI9row_indexNS9_17counting_iteratorImNS9_11use_defaultESD_SD_EESD_SD_EENS9_6detail15normal_iteratorINS9_10device_ptrIiEEEESK_iNS9_4plusIvEENS9_8equal_toIvEEiEE10hipError_tPvRmT2_T3_T4_T5_mT6_T7_P12ihipStream_tbENKUlT_T0_E_clISt17integral_constantIbLb0EES14_IbLb1EEEEDaS10_S11_EUlS10_E_NS1_11comp_targetILNS1_3genE10ELNS1_11target_archE1200ELNS1_3gpuE4ELNS1_3repE0EEENS1_30default_config_static_selectorELNS0_4arch9wavefront6targetE1EEEvT1_
		.amdhsa_group_segment_fixed_size 0
		.amdhsa_private_segment_fixed_size 0
		.amdhsa_kernarg_size 120
		.amdhsa_user_sgpr_count 6
		.amdhsa_user_sgpr_private_segment_buffer 1
		.amdhsa_user_sgpr_dispatch_ptr 0
		.amdhsa_user_sgpr_queue_ptr 0
		.amdhsa_user_sgpr_kernarg_segment_ptr 1
		.amdhsa_user_sgpr_dispatch_id 0
		.amdhsa_user_sgpr_flat_scratch_init 0
		.amdhsa_user_sgpr_private_segment_size 0
		.amdhsa_uses_dynamic_stack 0
		.amdhsa_system_sgpr_private_segment_wavefront_offset 0
		.amdhsa_system_sgpr_workgroup_id_x 1
		.amdhsa_system_sgpr_workgroup_id_y 0
		.amdhsa_system_sgpr_workgroup_id_z 0
		.amdhsa_system_sgpr_workgroup_info 0
		.amdhsa_system_vgpr_workitem_id 0
		.amdhsa_next_free_vgpr 1
		.amdhsa_next_free_sgpr 0
		.amdhsa_reserve_vcc 0
		.amdhsa_reserve_flat_scratch 0
		.amdhsa_float_round_mode_32 0
		.amdhsa_float_round_mode_16_64 0
		.amdhsa_float_denorm_mode_32 3
		.amdhsa_float_denorm_mode_16_64 3
		.amdhsa_dx10_clamp 1
		.amdhsa_ieee_mode 1
		.amdhsa_fp16_overflow 0
		.amdhsa_exception_fp_ieee_invalid_op 0
		.amdhsa_exception_fp_denorm_src 0
		.amdhsa_exception_fp_ieee_div_zero 0
		.amdhsa_exception_fp_ieee_overflow 0
		.amdhsa_exception_fp_ieee_underflow 0
		.amdhsa_exception_fp_ieee_inexact 0
		.amdhsa_exception_int_div_zero 0
	.end_amdhsa_kernel
	.section	.text._ZN7rocprim17ROCPRIM_400000_NS6detail17trampoline_kernelINS0_14default_configENS1_27scan_by_key_config_selectorImiEEZZNS1_16scan_by_key_implILNS1_25lookback_scan_determinismE0ELb0ES3_N6thrust23THRUST_200600_302600_NS18transform_iteratorI9row_indexNS9_17counting_iteratorImNS9_11use_defaultESD_SD_EESD_SD_EENS9_6detail15normal_iteratorINS9_10device_ptrIiEEEESK_iNS9_4plusIvEENS9_8equal_toIvEEiEE10hipError_tPvRmT2_T3_T4_T5_mT6_T7_P12ihipStream_tbENKUlT_T0_E_clISt17integral_constantIbLb0EES14_IbLb1EEEEDaS10_S11_EUlS10_E_NS1_11comp_targetILNS1_3genE10ELNS1_11target_archE1200ELNS1_3gpuE4ELNS1_3repE0EEENS1_30default_config_static_selectorELNS0_4arch9wavefront6targetE1EEEvT1_,"axG",@progbits,_ZN7rocprim17ROCPRIM_400000_NS6detail17trampoline_kernelINS0_14default_configENS1_27scan_by_key_config_selectorImiEEZZNS1_16scan_by_key_implILNS1_25lookback_scan_determinismE0ELb0ES3_N6thrust23THRUST_200600_302600_NS18transform_iteratorI9row_indexNS9_17counting_iteratorImNS9_11use_defaultESD_SD_EESD_SD_EENS9_6detail15normal_iteratorINS9_10device_ptrIiEEEESK_iNS9_4plusIvEENS9_8equal_toIvEEiEE10hipError_tPvRmT2_T3_T4_T5_mT6_T7_P12ihipStream_tbENKUlT_T0_E_clISt17integral_constantIbLb0EES14_IbLb1EEEEDaS10_S11_EUlS10_E_NS1_11comp_targetILNS1_3genE10ELNS1_11target_archE1200ELNS1_3gpuE4ELNS1_3repE0EEENS1_30default_config_static_selectorELNS0_4arch9wavefront6targetE1EEEvT1_,comdat
.Lfunc_end42:
	.size	_ZN7rocprim17ROCPRIM_400000_NS6detail17trampoline_kernelINS0_14default_configENS1_27scan_by_key_config_selectorImiEEZZNS1_16scan_by_key_implILNS1_25lookback_scan_determinismE0ELb0ES3_N6thrust23THRUST_200600_302600_NS18transform_iteratorI9row_indexNS9_17counting_iteratorImNS9_11use_defaultESD_SD_EESD_SD_EENS9_6detail15normal_iteratorINS9_10device_ptrIiEEEESK_iNS9_4plusIvEENS9_8equal_toIvEEiEE10hipError_tPvRmT2_T3_T4_T5_mT6_T7_P12ihipStream_tbENKUlT_T0_E_clISt17integral_constantIbLb0EES14_IbLb1EEEEDaS10_S11_EUlS10_E_NS1_11comp_targetILNS1_3genE10ELNS1_11target_archE1200ELNS1_3gpuE4ELNS1_3repE0EEENS1_30default_config_static_selectorELNS0_4arch9wavefront6targetE1EEEvT1_, .Lfunc_end42-_ZN7rocprim17ROCPRIM_400000_NS6detail17trampoline_kernelINS0_14default_configENS1_27scan_by_key_config_selectorImiEEZZNS1_16scan_by_key_implILNS1_25lookback_scan_determinismE0ELb0ES3_N6thrust23THRUST_200600_302600_NS18transform_iteratorI9row_indexNS9_17counting_iteratorImNS9_11use_defaultESD_SD_EESD_SD_EENS9_6detail15normal_iteratorINS9_10device_ptrIiEEEESK_iNS9_4plusIvEENS9_8equal_toIvEEiEE10hipError_tPvRmT2_T3_T4_T5_mT6_T7_P12ihipStream_tbENKUlT_T0_E_clISt17integral_constantIbLb0EES14_IbLb1EEEEDaS10_S11_EUlS10_E_NS1_11comp_targetILNS1_3genE10ELNS1_11target_archE1200ELNS1_3gpuE4ELNS1_3repE0EEENS1_30default_config_static_selectorELNS0_4arch9wavefront6targetE1EEEvT1_
                                        ; -- End function
	.set _ZN7rocprim17ROCPRIM_400000_NS6detail17trampoline_kernelINS0_14default_configENS1_27scan_by_key_config_selectorImiEEZZNS1_16scan_by_key_implILNS1_25lookback_scan_determinismE0ELb0ES3_N6thrust23THRUST_200600_302600_NS18transform_iteratorI9row_indexNS9_17counting_iteratorImNS9_11use_defaultESD_SD_EESD_SD_EENS9_6detail15normal_iteratorINS9_10device_ptrIiEEEESK_iNS9_4plusIvEENS9_8equal_toIvEEiEE10hipError_tPvRmT2_T3_T4_T5_mT6_T7_P12ihipStream_tbENKUlT_T0_E_clISt17integral_constantIbLb0EES14_IbLb1EEEEDaS10_S11_EUlS10_E_NS1_11comp_targetILNS1_3genE10ELNS1_11target_archE1200ELNS1_3gpuE4ELNS1_3repE0EEENS1_30default_config_static_selectorELNS0_4arch9wavefront6targetE1EEEvT1_.num_vgpr, 0
	.set _ZN7rocprim17ROCPRIM_400000_NS6detail17trampoline_kernelINS0_14default_configENS1_27scan_by_key_config_selectorImiEEZZNS1_16scan_by_key_implILNS1_25lookback_scan_determinismE0ELb0ES3_N6thrust23THRUST_200600_302600_NS18transform_iteratorI9row_indexNS9_17counting_iteratorImNS9_11use_defaultESD_SD_EESD_SD_EENS9_6detail15normal_iteratorINS9_10device_ptrIiEEEESK_iNS9_4plusIvEENS9_8equal_toIvEEiEE10hipError_tPvRmT2_T3_T4_T5_mT6_T7_P12ihipStream_tbENKUlT_T0_E_clISt17integral_constantIbLb0EES14_IbLb1EEEEDaS10_S11_EUlS10_E_NS1_11comp_targetILNS1_3genE10ELNS1_11target_archE1200ELNS1_3gpuE4ELNS1_3repE0EEENS1_30default_config_static_selectorELNS0_4arch9wavefront6targetE1EEEvT1_.num_agpr, 0
	.set _ZN7rocprim17ROCPRIM_400000_NS6detail17trampoline_kernelINS0_14default_configENS1_27scan_by_key_config_selectorImiEEZZNS1_16scan_by_key_implILNS1_25lookback_scan_determinismE0ELb0ES3_N6thrust23THRUST_200600_302600_NS18transform_iteratorI9row_indexNS9_17counting_iteratorImNS9_11use_defaultESD_SD_EESD_SD_EENS9_6detail15normal_iteratorINS9_10device_ptrIiEEEESK_iNS9_4plusIvEENS9_8equal_toIvEEiEE10hipError_tPvRmT2_T3_T4_T5_mT6_T7_P12ihipStream_tbENKUlT_T0_E_clISt17integral_constantIbLb0EES14_IbLb1EEEEDaS10_S11_EUlS10_E_NS1_11comp_targetILNS1_3genE10ELNS1_11target_archE1200ELNS1_3gpuE4ELNS1_3repE0EEENS1_30default_config_static_selectorELNS0_4arch9wavefront6targetE1EEEvT1_.numbered_sgpr, 0
	.set _ZN7rocprim17ROCPRIM_400000_NS6detail17trampoline_kernelINS0_14default_configENS1_27scan_by_key_config_selectorImiEEZZNS1_16scan_by_key_implILNS1_25lookback_scan_determinismE0ELb0ES3_N6thrust23THRUST_200600_302600_NS18transform_iteratorI9row_indexNS9_17counting_iteratorImNS9_11use_defaultESD_SD_EESD_SD_EENS9_6detail15normal_iteratorINS9_10device_ptrIiEEEESK_iNS9_4plusIvEENS9_8equal_toIvEEiEE10hipError_tPvRmT2_T3_T4_T5_mT6_T7_P12ihipStream_tbENKUlT_T0_E_clISt17integral_constantIbLb0EES14_IbLb1EEEEDaS10_S11_EUlS10_E_NS1_11comp_targetILNS1_3genE10ELNS1_11target_archE1200ELNS1_3gpuE4ELNS1_3repE0EEENS1_30default_config_static_selectorELNS0_4arch9wavefront6targetE1EEEvT1_.num_named_barrier, 0
	.set _ZN7rocprim17ROCPRIM_400000_NS6detail17trampoline_kernelINS0_14default_configENS1_27scan_by_key_config_selectorImiEEZZNS1_16scan_by_key_implILNS1_25lookback_scan_determinismE0ELb0ES3_N6thrust23THRUST_200600_302600_NS18transform_iteratorI9row_indexNS9_17counting_iteratorImNS9_11use_defaultESD_SD_EESD_SD_EENS9_6detail15normal_iteratorINS9_10device_ptrIiEEEESK_iNS9_4plusIvEENS9_8equal_toIvEEiEE10hipError_tPvRmT2_T3_T4_T5_mT6_T7_P12ihipStream_tbENKUlT_T0_E_clISt17integral_constantIbLb0EES14_IbLb1EEEEDaS10_S11_EUlS10_E_NS1_11comp_targetILNS1_3genE10ELNS1_11target_archE1200ELNS1_3gpuE4ELNS1_3repE0EEENS1_30default_config_static_selectorELNS0_4arch9wavefront6targetE1EEEvT1_.private_seg_size, 0
	.set _ZN7rocprim17ROCPRIM_400000_NS6detail17trampoline_kernelINS0_14default_configENS1_27scan_by_key_config_selectorImiEEZZNS1_16scan_by_key_implILNS1_25lookback_scan_determinismE0ELb0ES3_N6thrust23THRUST_200600_302600_NS18transform_iteratorI9row_indexNS9_17counting_iteratorImNS9_11use_defaultESD_SD_EESD_SD_EENS9_6detail15normal_iteratorINS9_10device_ptrIiEEEESK_iNS9_4plusIvEENS9_8equal_toIvEEiEE10hipError_tPvRmT2_T3_T4_T5_mT6_T7_P12ihipStream_tbENKUlT_T0_E_clISt17integral_constantIbLb0EES14_IbLb1EEEEDaS10_S11_EUlS10_E_NS1_11comp_targetILNS1_3genE10ELNS1_11target_archE1200ELNS1_3gpuE4ELNS1_3repE0EEENS1_30default_config_static_selectorELNS0_4arch9wavefront6targetE1EEEvT1_.uses_vcc, 0
	.set _ZN7rocprim17ROCPRIM_400000_NS6detail17trampoline_kernelINS0_14default_configENS1_27scan_by_key_config_selectorImiEEZZNS1_16scan_by_key_implILNS1_25lookback_scan_determinismE0ELb0ES3_N6thrust23THRUST_200600_302600_NS18transform_iteratorI9row_indexNS9_17counting_iteratorImNS9_11use_defaultESD_SD_EESD_SD_EENS9_6detail15normal_iteratorINS9_10device_ptrIiEEEESK_iNS9_4plusIvEENS9_8equal_toIvEEiEE10hipError_tPvRmT2_T3_T4_T5_mT6_T7_P12ihipStream_tbENKUlT_T0_E_clISt17integral_constantIbLb0EES14_IbLb1EEEEDaS10_S11_EUlS10_E_NS1_11comp_targetILNS1_3genE10ELNS1_11target_archE1200ELNS1_3gpuE4ELNS1_3repE0EEENS1_30default_config_static_selectorELNS0_4arch9wavefront6targetE1EEEvT1_.uses_flat_scratch, 0
	.set _ZN7rocprim17ROCPRIM_400000_NS6detail17trampoline_kernelINS0_14default_configENS1_27scan_by_key_config_selectorImiEEZZNS1_16scan_by_key_implILNS1_25lookback_scan_determinismE0ELb0ES3_N6thrust23THRUST_200600_302600_NS18transform_iteratorI9row_indexNS9_17counting_iteratorImNS9_11use_defaultESD_SD_EESD_SD_EENS9_6detail15normal_iteratorINS9_10device_ptrIiEEEESK_iNS9_4plusIvEENS9_8equal_toIvEEiEE10hipError_tPvRmT2_T3_T4_T5_mT6_T7_P12ihipStream_tbENKUlT_T0_E_clISt17integral_constantIbLb0EES14_IbLb1EEEEDaS10_S11_EUlS10_E_NS1_11comp_targetILNS1_3genE10ELNS1_11target_archE1200ELNS1_3gpuE4ELNS1_3repE0EEENS1_30default_config_static_selectorELNS0_4arch9wavefront6targetE1EEEvT1_.has_dyn_sized_stack, 0
	.set _ZN7rocprim17ROCPRIM_400000_NS6detail17trampoline_kernelINS0_14default_configENS1_27scan_by_key_config_selectorImiEEZZNS1_16scan_by_key_implILNS1_25lookback_scan_determinismE0ELb0ES3_N6thrust23THRUST_200600_302600_NS18transform_iteratorI9row_indexNS9_17counting_iteratorImNS9_11use_defaultESD_SD_EESD_SD_EENS9_6detail15normal_iteratorINS9_10device_ptrIiEEEESK_iNS9_4plusIvEENS9_8equal_toIvEEiEE10hipError_tPvRmT2_T3_T4_T5_mT6_T7_P12ihipStream_tbENKUlT_T0_E_clISt17integral_constantIbLb0EES14_IbLb1EEEEDaS10_S11_EUlS10_E_NS1_11comp_targetILNS1_3genE10ELNS1_11target_archE1200ELNS1_3gpuE4ELNS1_3repE0EEENS1_30default_config_static_selectorELNS0_4arch9wavefront6targetE1EEEvT1_.has_recursion, 0
	.set _ZN7rocprim17ROCPRIM_400000_NS6detail17trampoline_kernelINS0_14default_configENS1_27scan_by_key_config_selectorImiEEZZNS1_16scan_by_key_implILNS1_25lookback_scan_determinismE0ELb0ES3_N6thrust23THRUST_200600_302600_NS18transform_iteratorI9row_indexNS9_17counting_iteratorImNS9_11use_defaultESD_SD_EESD_SD_EENS9_6detail15normal_iteratorINS9_10device_ptrIiEEEESK_iNS9_4plusIvEENS9_8equal_toIvEEiEE10hipError_tPvRmT2_T3_T4_T5_mT6_T7_P12ihipStream_tbENKUlT_T0_E_clISt17integral_constantIbLb0EES14_IbLb1EEEEDaS10_S11_EUlS10_E_NS1_11comp_targetILNS1_3genE10ELNS1_11target_archE1200ELNS1_3gpuE4ELNS1_3repE0EEENS1_30default_config_static_selectorELNS0_4arch9wavefront6targetE1EEEvT1_.has_indirect_call, 0
	.section	.AMDGPU.csdata,"",@progbits
; Kernel info:
; codeLenInByte = 0
; TotalNumSgprs: 4
; NumVgprs: 0
; ScratchSize: 0
; MemoryBound: 0
; FloatMode: 240
; IeeeMode: 1
; LDSByteSize: 0 bytes/workgroup (compile time only)
; SGPRBlocks: 0
; VGPRBlocks: 0
; NumSGPRsForWavesPerEU: 4
; NumVGPRsForWavesPerEU: 1
; Occupancy: 10
; WaveLimiterHint : 0
; COMPUTE_PGM_RSRC2:SCRATCH_EN: 0
; COMPUTE_PGM_RSRC2:USER_SGPR: 6
; COMPUTE_PGM_RSRC2:TRAP_HANDLER: 0
; COMPUTE_PGM_RSRC2:TGID_X_EN: 1
; COMPUTE_PGM_RSRC2:TGID_Y_EN: 0
; COMPUTE_PGM_RSRC2:TGID_Z_EN: 0
; COMPUTE_PGM_RSRC2:TIDIG_COMP_CNT: 0
	.section	.text._ZN7rocprim17ROCPRIM_400000_NS6detail17trampoline_kernelINS0_14default_configENS1_27scan_by_key_config_selectorImiEEZZNS1_16scan_by_key_implILNS1_25lookback_scan_determinismE0ELb0ES3_N6thrust23THRUST_200600_302600_NS18transform_iteratorI9row_indexNS9_17counting_iteratorImNS9_11use_defaultESD_SD_EESD_SD_EENS9_6detail15normal_iteratorINS9_10device_ptrIiEEEESK_iNS9_4plusIvEENS9_8equal_toIvEEiEE10hipError_tPvRmT2_T3_T4_T5_mT6_T7_P12ihipStream_tbENKUlT_T0_E_clISt17integral_constantIbLb0EES14_IbLb1EEEEDaS10_S11_EUlS10_E_NS1_11comp_targetILNS1_3genE9ELNS1_11target_archE1100ELNS1_3gpuE3ELNS1_3repE0EEENS1_30default_config_static_selectorELNS0_4arch9wavefront6targetE1EEEvT1_,"axG",@progbits,_ZN7rocprim17ROCPRIM_400000_NS6detail17trampoline_kernelINS0_14default_configENS1_27scan_by_key_config_selectorImiEEZZNS1_16scan_by_key_implILNS1_25lookback_scan_determinismE0ELb0ES3_N6thrust23THRUST_200600_302600_NS18transform_iteratorI9row_indexNS9_17counting_iteratorImNS9_11use_defaultESD_SD_EESD_SD_EENS9_6detail15normal_iteratorINS9_10device_ptrIiEEEESK_iNS9_4plusIvEENS9_8equal_toIvEEiEE10hipError_tPvRmT2_T3_T4_T5_mT6_T7_P12ihipStream_tbENKUlT_T0_E_clISt17integral_constantIbLb0EES14_IbLb1EEEEDaS10_S11_EUlS10_E_NS1_11comp_targetILNS1_3genE9ELNS1_11target_archE1100ELNS1_3gpuE3ELNS1_3repE0EEENS1_30default_config_static_selectorELNS0_4arch9wavefront6targetE1EEEvT1_,comdat
	.protected	_ZN7rocprim17ROCPRIM_400000_NS6detail17trampoline_kernelINS0_14default_configENS1_27scan_by_key_config_selectorImiEEZZNS1_16scan_by_key_implILNS1_25lookback_scan_determinismE0ELb0ES3_N6thrust23THRUST_200600_302600_NS18transform_iteratorI9row_indexNS9_17counting_iteratorImNS9_11use_defaultESD_SD_EESD_SD_EENS9_6detail15normal_iteratorINS9_10device_ptrIiEEEESK_iNS9_4plusIvEENS9_8equal_toIvEEiEE10hipError_tPvRmT2_T3_T4_T5_mT6_T7_P12ihipStream_tbENKUlT_T0_E_clISt17integral_constantIbLb0EES14_IbLb1EEEEDaS10_S11_EUlS10_E_NS1_11comp_targetILNS1_3genE9ELNS1_11target_archE1100ELNS1_3gpuE3ELNS1_3repE0EEENS1_30default_config_static_selectorELNS0_4arch9wavefront6targetE1EEEvT1_ ; -- Begin function _ZN7rocprim17ROCPRIM_400000_NS6detail17trampoline_kernelINS0_14default_configENS1_27scan_by_key_config_selectorImiEEZZNS1_16scan_by_key_implILNS1_25lookback_scan_determinismE0ELb0ES3_N6thrust23THRUST_200600_302600_NS18transform_iteratorI9row_indexNS9_17counting_iteratorImNS9_11use_defaultESD_SD_EESD_SD_EENS9_6detail15normal_iteratorINS9_10device_ptrIiEEEESK_iNS9_4plusIvEENS9_8equal_toIvEEiEE10hipError_tPvRmT2_T3_T4_T5_mT6_T7_P12ihipStream_tbENKUlT_T0_E_clISt17integral_constantIbLb0EES14_IbLb1EEEEDaS10_S11_EUlS10_E_NS1_11comp_targetILNS1_3genE9ELNS1_11target_archE1100ELNS1_3gpuE3ELNS1_3repE0EEENS1_30default_config_static_selectorELNS0_4arch9wavefront6targetE1EEEvT1_
	.globl	_ZN7rocprim17ROCPRIM_400000_NS6detail17trampoline_kernelINS0_14default_configENS1_27scan_by_key_config_selectorImiEEZZNS1_16scan_by_key_implILNS1_25lookback_scan_determinismE0ELb0ES3_N6thrust23THRUST_200600_302600_NS18transform_iteratorI9row_indexNS9_17counting_iteratorImNS9_11use_defaultESD_SD_EESD_SD_EENS9_6detail15normal_iteratorINS9_10device_ptrIiEEEESK_iNS9_4plusIvEENS9_8equal_toIvEEiEE10hipError_tPvRmT2_T3_T4_T5_mT6_T7_P12ihipStream_tbENKUlT_T0_E_clISt17integral_constantIbLb0EES14_IbLb1EEEEDaS10_S11_EUlS10_E_NS1_11comp_targetILNS1_3genE9ELNS1_11target_archE1100ELNS1_3gpuE3ELNS1_3repE0EEENS1_30default_config_static_selectorELNS0_4arch9wavefront6targetE1EEEvT1_
	.p2align	8
	.type	_ZN7rocprim17ROCPRIM_400000_NS6detail17trampoline_kernelINS0_14default_configENS1_27scan_by_key_config_selectorImiEEZZNS1_16scan_by_key_implILNS1_25lookback_scan_determinismE0ELb0ES3_N6thrust23THRUST_200600_302600_NS18transform_iteratorI9row_indexNS9_17counting_iteratorImNS9_11use_defaultESD_SD_EESD_SD_EENS9_6detail15normal_iteratorINS9_10device_ptrIiEEEESK_iNS9_4plusIvEENS9_8equal_toIvEEiEE10hipError_tPvRmT2_T3_T4_T5_mT6_T7_P12ihipStream_tbENKUlT_T0_E_clISt17integral_constantIbLb0EES14_IbLb1EEEEDaS10_S11_EUlS10_E_NS1_11comp_targetILNS1_3genE9ELNS1_11target_archE1100ELNS1_3gpuE3ELNS1_3repE0EEENS1_30default_config_static_selectorELNS0_4arch9wavefront6targetE1EEEvT1_,@function
_ZN7rocprim17ROCPRIM_400000_NS6detail17trampoline_kernelINS0_14default_configENS1_27scan_by_key_config_selectorImiEEZZNS1_16scan_by_key_implILNS1_25lookback_scan_determinismE0ELb0ES3_N6thrust23THRUST_200600_302600_NS18transform_iteratorI9row_indexNS9_17counting_iteratorImNS9_11use_defaultESD_SD_EESD_SD_EENS9_6detail15normal_iteratorINS9_10device_ptrIiEEEESK_iNS9_4plusIvEENS9_8equal_toIvEEiEE10hipError_tPvRmT2_T3_T4_T5_mT6_T7_P12ihipStream_tbENKUlT_T0_E_clISt17integral_constantIbLb0EES14_IbLb1EEEEDaS10_S11_EUlS10_E_NS1_11comp_targetILNS1_3genE9ELNS1_11target_archE1100ELNS1_3gpuE3ELNS1_3repE0EEENS1_30default_config_static_selectorELNS0_4arch9wavefront6targetE1EEEvT1_: ; @_ZN7rocprim17ROCPRIM_400000_NS6detail17trampoline_kernelINS0_14default_configENS1_27scan_by_key_config_selectorImiEEZZNS1_16scan_by_key_implILNS1_25lookback_scan_determinismE0ELb0ES3_N6thrust23THRUST_200600_302600_NS18transform_iteratorI9row_indexNS9_17counting_iteratorImNS9_11use_defaultESD_SD_EESD_SD_EENS9_6detail15normal_iteratorINS9_10device_ptrIiEEEESK_iNS9_4plusIvEENS9_8equal_toIvEEiEE10hipError_tPvRmT2_T3_T4_T5_mT6_T7_P12ihipStream_tbENKUlT_T0_E_clISt17integral_constantIbLb0EES14_IbLb1EEEEDaS10_S11_EUlS10_E_NS1_11comp_targetILNS1_3genE9ELNS1_11target_archE1100ELNS1_3gpuE3ELNS1_3repE0EEENS1_30default_config_static_selectorELNS0_4arch9wavefront6targetE1EEEvT1_
; %bb.0:
	.section	.rodata,"a",@progbits
	.p2align	6, 0x0
	.amdhsa_kernel _ZN7rocprim17ROCPRIM_400000_NS6detail17trampoline_kernelINS0_14default_configENS1_27scan_by_key_config_selectorImiEEZZNS1_16scan_by_key_implILNS1_25lookback_scan_determinismE0ELb0ES3_N6thrust23THRUST_200600_302600_NS18transform_iteratorI9row_indexNS9_17counting_iteratorImNS9_11use_defaultESD_SD_EESD_SD_EENS9_6detail15normal_iteratorINS9_10device_ptrIiEEEESK_iNS9_4plusIvEENS9_8equal_toIvEEiEE10hipError_tPvRmT2_T3_T4_T5_mT6_T7_P12ihipStream_tbENKUlT_T0_E_clISt17integral_constantIbLb0EES14_IbLb1EEEEDaS10_S11_EUlS10_E_NS1_11comp_targetILNS1_3genE9ELNS1_11target_archE1100ELNS1_3gpuE3ELNS1_3repE0EEENS1_30default_config_static_selectorELNS0_4arch9wavefront6targetE1EEEvT1_
		.amdhsa_group_segment_fixed_size 0
		.amdhsa_private_segment_fixed_size 0
		.amdhsa_kernarg_size 120
		.amdhsa_user_sgpr_count 6
		.amdhsa_user_sgpr_private_segment_buffer 1
		.amdhsa_user_sgpr_dispatch_ptr 0
		.amdhsa_user_sgpr_queue_ptr 0
		.amdhsa_user_sgpr_kernarg_segment_ptr 1
		.amdhsa_user_sgpr_dispatch_id 0
		.amdhsa_user_sgpr_flat_scratch_init 0
		.amdhsa_user_sgpr_private_segment_size 0
		.amdhsa_uses_dynamic_stack 0
		.amdhsa_system_sgpr_private_segment_wavefront_offset 0
		.amdhsa_system_sgpr_workgroup_id_x 1
		.amdhsa_system_sgpr_workgroup_id_y 0
		.amdhsa_system_sgpr_workgroup_id_z 0
		.amdhsa_system_sgpr_workgroup_info 0
		.amdhsa_system_vgpr_workitem_id 0
		.amdhsa_next_free_vgpr 1
		.amdhsa_next_free_sgpr 0
		.amdhsa_reserve_vcc 0
		.amdhsa_reserve_flat_scratch 0
		.amdhsa_float_round_mode_32 0
		.amdhsa_float_round_mode_16_64 0
		.amdhsa_float_denorm_mode_32 3
		.amdhsa_float_denorm_mode_16_64 3
		.amdhsa_dx10_clamp 1
		.amdhsa_ieee_mode 1
		.amdhsa_fp16_overflow 0
		.amdhsa_exception_fp_ieee_invalid_op 0
		.amdhsa_exception_fp_denorm_src 0
		.amdhsa_exception_fp_ieee_div_zero 0
		.amdhsa_exception_fp_ieee_overflow 0
		.amdhsa_exception_fp_ieee_underflow 0
		.amdhsa_exception_fp_ieee_inexact 0
		.amdhsa_exception_int_div_zero 0
	.end_amdhsa_kernel
	.section	.text._ZN7rocprim17ROCPRIM_400000_NS6detail17trampoline_kernelINS0_14default_configENS1_27scan_by_key_config_selectorImiEEZZNS1_16scan_by_key_implILNS1_25lookback_scan_determinismE0ELb0ES3_N6thrust23THRUST_200600_302600_NS18transform_iteratorI9row_indexNS9_17counting_iteratorImNS9_11use_defaultESD_SD_EESD_SD_EENS9_6detail15normal_iteratorINS9_10device_ptrIiEEEESK_iNS9_4plusIvEENS9_8equal_toIvEEiEE10hipError_tPvRmT2_T3_T4_T5_mT6_T7_P12ihipStream_tbENKUlT_T0_E_clISt17integral_constantIbLb0EES14_IbLb1EEEEDaS10_S11_EUlS10_E_NS1_11comp_targetILNS1_3genE9ELNS1_11target_archE1100ELNS1_3gpuE3ELNS1_3repE0EEENS1_30default_config_static_selectorELNS0_4arch9wavefront6targetE1EEEvT1_,"axG",@progbits,_ZN7rocprim17ROCPRIM_400000_NS6detail17trampoline_kernelINS0_14default_configENS1_27scan_by_key_config_selectorImiEEZZNS1_16scan_by_key_implILNS1_25lookback_scan_determinismE0ELb0ES3_N6thrust23THRUST_200600_302600_NS18transform_iteratorI9row_indexNS9_17counting_iteratorImNS9_11use_defaultESD_SD_EESD_SD_EENS9_6detail15normal_iteratorINS9_10device_ptrIiEEEESK_iNS9_4plusIvEENS9_8equal_toIvEEiEE10hipError_tPvRmT2_T3_T4_T5_mT6_T7_P12ihipStream_tbENKUlT_T0_E_clISt17integral_constantIbLb0EES14_IbLb1EEEEDaS10_S11_EUlS10_E_NS1_11comp_targetILNS1_3genE9ELNS1_11target_archE1100ELNS1_3gpuE3ELNS1_3repE0EEENS1_30default_config_static_selectorELNS0_4arch9wavefront6targetE1EEEvT1_,comdat
.Lfunc_end43:
	.size	_ZN7rocprim17ROCPRIM_400000_NS6detail17trampoline_kernelINS0_14default_configENS1_27scan_by_key_config_selectorImiEEZZNS1_16scan_by_key_implILNS1_25lookback_scan_determinismE0ELb0ES3_N6thrust23THRUST_200600_302600_NS18transform_iteratorI9row_indexNS9_17counting_iteratorImNS9_11use_defaultESD_SD_EESD_SD_EENS9_6detail15normal_iteratorINS9_10device_ptrIiEEEESK_iNS9_4plusIvEENS9_8equal_toIvEEiEE10hipError_tPvRmT2_T3_T4_T5_mT6_T7_P12ihipStream_tbENKUlT_T0_E_clISt17integral_constantIbLb0EES14_IbLb1EEEEDaS10_S11_EUlS10_E_NS1_11comp_targetILNS1_3genE9ELNS1_11target_archE1100ELNS1_3gpuE3ELNS1_3repE0EEENS1_30default_config_static_selectorELNS0_4arch9wavefront6targetE1EEEvT1_, .Lfunc_end43-_ZN7rocprim17ROCPRIM_400000_NS6detail17trampoline_kernelINS0_14default_configENS1_27scan_by_key_config_selectorImiEEZZNS1_16scan_by_key_implILNS1_25lookback_scan_determinismE0ELb0ES3_N6thrust23THRUST_200600_302600_NS18transform_iteratorI9row_indexNS9_17counting_iteratorImNS9_11use_defaultESD_SD_EESD_SD_EENS9_6detail15normal_iteratorINS9_10device_ptrIiEEEESK_iNS9_4plusIvEENS9_8equal_toIvEEiEE10hipError_tPvRmT2_T3_T4_T5_mT6_T7_P12ihipStream_tbENKUlT_T0_E_clISt17integral_constantIbLb0EES14_IbLb1EEEEDaS10_S11_EUlS10_E_NS1_11comp_targetILNS1_3genE9ELNS1_11target_archE1100ELNS1_3gpuE3ELNS1_3repE0EEENS1_30default_config_static_selectorELNS0_4arch9wavefront6targetE1EEEvT1_
                                        ; -- End function
	.set _ZN7rocprim17ROCPRIM_400000_NS6detail17trampoline_kernelINS0_14default_configENS1_27scan_by_key_config_selectorImiEEZZNS1_16scan_by_key_implILNS1_25lookback_scan_determinismE0ELb0ES3_N6thrust23THRUST_200600_302600_NS18transform_iteratorI9row_indexNS9_17counting_iteratorImNS9_11use_defaultESD_SD_EESD_SD_EENS9_6detail15normal_iteratorINS9_10device_ptrIiEEEESK_iNS9_4plusIvEENS9_8equal_toIvEEiEE10hipError_tPvRmT2_T3_T4_T5_mT6_T7_P12ihipStream_tbENKUlT_T0_E_clISt17integral_constantIbLb0EES14_IbLb1EEEEDaS10_S11_EUlS10_E_NS1_11comp_targetILNS1_3genE9ELNS1_11target_archE1100ELNS1_3gpuE3ELNS1_3repE0EEENS1_30default_config_static_selectorELNS0_4arch9wavefront6targetE1EEEvT1_.num_vgpr, 0
	.set _ZN7rocprim17ROCPRIM_400000_NS6detail17trampoline_kernelINS0_14default_configENS1_27scan_by_key_config_selectorImiEEZZNS1_16scan_by_key_implILNS1_25lookback_scan_determinismE0ELb0ES3_N6thrust23THRUST_200600_302600_NS18transform_iteratorI9row_indexNS9_17counting_iteratorImNS9_11use_defaultESD_SD_EESD_SD_EENS9_6detail15normal_iteratorINS9_10device_ptrIiEEEESK_iNS9_4plusIvEENS9_8equal_toIvEEiEE10hipError_tPvRmT2_T3_T4_T5_mT6_T7_P12ihipStream_tbENKUlT_T0_E_clISt17integral_constantIbLb0EES14_IbLb1EEEEDaS10_S11_EUlS10_E_NS1_11comp_targetILNS1_3genE9ELNS1_11target_archE1100ELNS1_3gpuE3ELNS1_3repE0EEENS1_30default_config_static_selectorELNS0_4arch9wavefront6targetE1EEEvT1_.num_agpr, 0
	.set _ZN7rocprim17ROCPRIM_400000_NS6detail17trampoline_kernelINS0_14default_configENS1_27scan_by_key_config_selectorImiEEZZNS1_16scan_by_key_implILNS1_25lookback_scan_determinismE0ELb0ES3_N6thrust23THRUST_200600_302600_NS18transform_iteratorI9row_indexNS9_17counting_iteratorImNS9_11use_defaultESD_SD_EESD_SD_EENS9_6detail15normal_iteratorINS9_10device_ptrIiEEEESK_iNS9_4plusIvEENS9_8equal_toIvEEiEE10hipError_tPvRmT2_T3_T4_T5_mT6_T7_P12ihipStream_tbENKUlT_T0_E_clISt17integral_constantIbLb0EES14_IbLb1EEEEDaS10_S11_EUlS10_E_NS1_11comp_targetILNS1_3genE9ELNS1_11target_archE1100ELNS1_3gpuE3ELNS1_3repE0EEENS1_30default_config_static_selectorELNS0_4arch9wavefront6targetE1EEEvT1_.numbered_sgpr, 0
	.set _ZN7rocprim17ROCPRIM_400000_NS6detail17trampoline_kernelINS0_14default_configENS1_27scan_by_key_config_selectorImiEEZZNS1_16scan_by_key_implILNS1_25lookback_scan_determinismE0ELb0ES3_N6thrust23THRUST_200600_302600_NS18transform_iteratorI9row_indexNS9_17counting_iteratorImNS9_11use_defaultESD_SD_EESD_SD_EENS9_6detail15normal_iteratorINS9_10device_ptrIiEEEESK_iNS9_4plusIvEENS9_8equal_toIvEEiEE10hipError_tPvRmT2_T3_T4_T5_mT6_T7_P12ihipStream_tbENKUlT_T0_E_clISt17integral_constantIbLb0EES14_IbLb1EEEEDaS10_S11_EUlS10_E_NS1_11comp_targetILNS1_3genE9ELNS1_11target_archE1100ELNS1_3gpuE3ELNS1_3repE0EEENS1_30default_config_static_selectorELNS0_4arch9wavefront6targetE1EEEvT1_.num_named_barrier, 0
	.set _ZN7rocprim17ROCPRIM_400000_NS6detail17trampoline_kernelINS0_14default_configENS1_27scan_by_key_config_selectorImiEEZZNS1_16scan_by_key_implILNS1_25lookback_scan_determinismE0ELb0ES3_N6thrust23THRUST_200600_302600_NS18transform_iteratorI9row_indexNS9_17counting_iteratorImNS9_11use_defaultESD_SD_EESD_SD_EENS9_6detail15normal_iteratorINS9_10device_ptrIiEEEESK_iNS9_4plusIvEENS9_8equal_toIvEEiEE10hipError_tPvRmT2_T3_T4_T5_mT6_T7_P12ihipStream_tbENKUlT_T0_E_clISt17integral_constantIbLb0EES14_IbLb1EEEEDaS10_S11_EUlS10_E_NS1_11comp_targetILNS1_3genE9ELNS1_11target_archE1100ELNS1_3gpuE3ELNS1_3repE0EEENS1_30default_config_static_selectorELNS0_4arch9wavefront6targetE1EEEvT1_.private_seg_size, 0
	.set _ZN7rocprim17ROCPRIM_400000_NS6detail17trampoline_kernelINS0_14default_configENS1_27scan_by_key_config_selectorImiEEZZNS1_16scan_by_key_implILNS1_25lookback_scan_determinismE0ELb0ES3_N6thrust23THRUST_200600_302600_NS18transform_iteratorI9row_indexNS9_17counting_iteratorImNS9_11use_defaultESD_SD_EESD_SD_EENS9_6detail15normal_iteratorINS9_10device_ptrIiEEEESK_iNS9_4plusIvEENS9_8equal_toIvEEiEE10hipError_tPvRmT2_T3_T4_T5_mT6_T7_P12ihipStream_tbENKUlT_T0_E_clISt17integral_constantIbLb0EES14_IbLb1EEEEDaS10_S11_EUlS10_E_NS1_11comp_targetILNS1_3genE9ELNS1_11target_archE1100ELNS1_3gpuE3ELNS1_3repE0EEENS1_30default_config_static_selectorELNS0_4arch9wavefront6targetE1EEEvT1_.uses_vcc, 0
	.set _ZN7rocprim17ROCPRIM_400000_NS6detail17trampoline_kernelINS0_14default_configENS1_27scan_by_key_config_selectorImiEEZZNS1_16scan_by_key_implILNS1_25lookback_scan_determinismE0ELb0ES3_N6thrust23THRUST_200600_302600_NS18transform_iteratorI9row_indexNS9_17counting_iteratorImNS9_11use_defaultESD_SD_EESD_SD_EENS9_6detail15normal_iteratorINS9_10device_ptrIiEEEESK_iNS9_4plusIvEENS9_8equal_toIvEEiEE10hipError_tPvRmT2_T3_T4_T5_mT6_T7_P12ihipStream_tbENKUlT_T0_E_clISt17integral_constantIbLb0EES14_IbLb1EEEEDaS10_S11_EUlS10_E_NS1_11comp_targetILNS1_3genE9ELNS1_11target_archE1100ELNS1_3gpuE3ELNS1_3repE0EEENS1_30default_config_static_selectorELNS0_4arch9wavefront6targetE1EEEvT1_.uses_flat_scratch, 0
	.set _ZN7rocprim17ROCPRIM_400000_NS6detail17trampoline_kernelINS0_14default_configENS1_27scan_by_key_config_selectorImiEEZZNS1_16scan_by_key_implILNS1_25lookback_scan_determinismE0ELb0ES3_N6thrust23THRUST_200600_302600_NS18transform_iteratorI9row_indexNS9_17counting_iteratorImNS9_11use_defaultESD_SD_EESD_SD_EENS9_6detail15normal_iteratorINS9_10device_ptrIiEEEESK_iNS9_4plusIvEENS9_8equal_toIvEEiEE10hipError_tPvRmT2_T3_T4_T5_mT6_T7_P12ihipStream_tbENKUlT_T0_E_clISt17integral_constantIbLb0EES14_IbLb1EEEEDaS10_S11_EUlS10_E_NS1_11comp_targetILNS1_3genE9ELNS1_11target_archE1100ELNS1_3gpuE3ELNS1_3repE0EEENS1_30default_config_static_selectorELNS0_4arch9wavefront6targetE1EEEvT1_.has_dyn_sized_stack, 0
	.set _ZN7rocprim17ROCPRIM_400000_NS6detail17trampoline_kernelINS0_14default_configENS1_27scan_by_key_config_selectorImiEEZZNS1_16scan_by_key_implILNS1_25lookback_scan_determinismE0ELb0ES3_N6thrust23THRUST_200600_302600_NS18transform_iteratorI9row_indexNS9_17counting_iteratorImNS9_11use_defaultESD_SD_EESD_SD_EENS9_6detail15normal_iteratorINS9_10device_ptrIiEEEESK_iNS9_4plusIvEENS9_8equal_toIvEEiEE10hipError_tPvRmT2_T3_T4_T5_mT6_T7_P12ihipStream_tbENKUlT_T0_E_clISt17integral_constantIbLb0EES14_IbLb1EEEEDaS10_S11_EUlS10_E_NS1_11comp_targetILNS1_3genE9ELNS1_11target_archE1100ELNS1_3gpuE3ELNS1_3repE0EEENS1_30default_config_static_selectorELNS0_4arch9wavefront6targetE1EEEvT1_.has_recursion, 0
	.set _ZN7rocprim17ROCPRIM_400000_NS6detail17trampoline_kernelINS0_14default_configENS1_27scan_by_key_config_selectorImiEEZZNS1_16scan_by_key_implILNS1_25lookback_scan_determinismE0ELb0ES3_N6thrust23THRUST_200600_302600_NS18transform_iteratorI9row_indexNS9_17counting_iteratorImNS9_11use_defaultESD_SD_EESD_SD_EENS9_6detail15normal_iteratorINS9_10device_ptrIiEEEESK_iNS9_4plusIvEENS9_8equal_toIvEEiEE10hipError_tPvRmT2_T3_T4_T5_mT6_T7_P12ihipStream_tbENKUlT_T0_E_clISt17integral_constantIbLb0EES14_IbLb1EEEEDaS10_S11_EUlS10_E_NS1_11comp_targetILNS1_3genE9ELNS1_11target_archE1100ELNS1_3gpuE3ELNS1_3repE0EEENS1_30default_config_static_selectorELNS0_4arch9wavefront6targetE1EEEvT1_.has_indirect_call, 0
	.section	.AMDGPU.csdata,"",@progbits
; Kernel info:
; codeLenInByte = 0
; TotalNumSgprs: 4
; NumVgprs: 0
; ScratchSize: 0
; MemoryBound: 0
; FloatMode: 240
; IeeeMode: 1
; LDSByteSize: 0 bytes/workgroup (compile time only)
; SGPRBlocks: 0
; VGPRBlocks: 0
; NumSGPRsForWavesPerEU: 4
; NumVGPRsForWavesPerEU: 1
; Occupancy: 10
; WaveLimiterHint : 0
; COMPUTE_PGM_RSRC2:SCRATCH_EN: 0
; COMPUTE_PGM_RSRC2:USER_SGPR: 6
; COMPUTE_PGM_RSRC2:TRAP_HANDLER: 0
; COMPUTE_PGM_RSRC2:TGID_X_EN: 1
; COMPUTE_PGM_RSRC2:TGID_Y_EN: 0
; COMPUTE_PGM_RSRC2:TGID_Z_EN: 0
; COMPUTE_PGM_RSRC2:TIDIG_COMP_CNT: 0
	.section	.text._ZN7rocprim17ROCPRIM_400000_NS6detail17trampoline_kernelINS0_14default_configENS1_27scan_by_key_config_selectorImiEEZZNS1_16scan_by_key_implILNS1_25lookback_scan_determinismE0ELb0ES3_N6thrust23THRUST_200600_302600_NS18transform_iteratorI9row_indexNS9_17counting_iteratorImNS9_11use_defaultESD_SD_EESD_SD_EENS9_6detail15normal_iteratorINS9_10device_ptrIiEEEESK_iNS9_4plusIvEENS9_8equal_toIvEEiEE10hipError_tPvRmT2_T3_T4_T5_mT6_T7_P12ihipStream_tbENKUlT_T0_E_clISt17integral_constantIbLb0EES14_IbLb1EEEEDaS10_S11_EUlS10_E_NS1_11comp_targetILNS1_3genE8ELNS1_11target_archE1030ELNS1_3gpuE2ELNS1_3repE0EEENS1_30default_config_static_selectorELNS0_4arch9wavefront6targetE1EEEvT1_,"axG",@progbits,_ZN7rocprim17ROCPRIM_400000_NS6detail17trampoline_kernelINS0_14default_configENS1_27scan_by_key_config_selectorImiEEZZNS1_16scan_by_key_implILNS1_25lookback_scan_determinismE0ELb0ES3_N6thrust23THRUST_200600_302600_NS18transform_iteratorI9row_indexNS9_17counting_iteratorImNS9_11use_defaultESD_SD_EESD_SD_EENS9_6detail15normal_iteratorINS9_10device_ptrIiEEEESK_iNS9_4plusIvEENS9_8equal_toIvEEiEE10hipError_tPvRmT2_T3_T4_T5_mT6_T7_P12ihipStream_tbENKUlT_T0_E_clISt17integral_constantIbLb0EES14_IbLb1EEEEDaS10_S11_EUlS10_E_NS1_11comp_targetILNS1_3genE8ELNS1_11target_archE1030ELNS1_3gpuE2ELNS1_3repE0EEENS1_30default_config_static_selectorELNS0_4arch9wavefront6targetE1EEEvT1_,comdat
	.protected	_ZN7rocprim17ROCPRIM_400000_NS6detail17trampoline_kernelINS0_14default_configENS1_27scan_by_key_config_selectorImiEEZZNS1_16scan_by_key_implILNS1_25lookback_scan_determinismE0ELb0ES3_N6thrust23THRUST_200600_302600_NS18transform_iteratorI9row_indexNS9_17counting_iteratorImNS9_11use_defaultESD_SD_EESD_SD_EENS9_6detail15normal_iteratorINS9_10device_ptrIiEEEESK_iNS9_4plusIvEENS9_8equal_toIvEEiEE10hipError_tPvRmT2_T3_T4_T5_mT6_T7_P12ihipStream_tbENKUlT_T0_E_clISt17integral_constantIbLb0EES14_IbLb1EEEEDaS10_S11_EUlS10_E_NS1_11comp_targetILNS1_3genE8ELNS1_11target_archE1030ELNS1_3gpuE2ELNS1_3repE0EEENS1_30default_config_static_selectorELNS0_4arch9wavefront6targetE1EEEvT1_ ; -- Begin function _ZN7rocprim17ROCPRIM_400000_NS6detail17trampoline_kernelINS0_14default_configENS1_27scan_by_key_config_selectorImiEEZZNS1_16scan_by_key_implILNS1_25lookback_scan_determinismE0ELb0ES3_N6thrust23THRUST_200600_302600_NS18transform_iteratorI9row_indexNS9_17counting_iteratorImNS9_11use_defaultESD_SD_EESD_SD_EENS9_6detail15normal_iteratorINS9_10device_ptrIiEEEESK_iNS9_4plusIvEENS9_8equal_toIvEEiEE10hipError_tPvRmT2_T3_T4_T5_mT6_T7_P12ihipStream_tbENKUlT_T0_E_clISt17integral_constantIbLb0EES14_IbLb1EEEEDaS10_S11_EUlS10_E_NS1_11comp_targetILNS1_3genE8ELNS1_11target_archE1030ELNS1_3gpuE2ELNS1_3repE0EEENS1_30default_config_static_selectorELNS0_4arch9wavefront6targetE1EEEvT1_
	.globl	_ZN7rocprim17ROCPRIM_400000_NS6detail17trampoline_kernelINS0_14default_configENS1_27scan_by_key_config_selectorImiEEZZNS1_16scan_by_key_implILNS1_25lookback_scan_determinismE0ELb0ES3_N6thrust23THRUST_200600_302600_NS18transform_iteratorI9row_indexNS9_17counting_iteratorImNS9_11use_defaultESD_SD_EESD_SD_EENS9_6detail15normal_iteratorINS9_10device_ptrIiEEEESK_iNS9_4plusIvEENS9_8equal_toIvEEiEE10hipError_tPvRmT2_T3_T4_T5_mT6_T7_P12ihipStream_tbENKUlT_T0_E_clISt17integral_constantIbLb0EES14_IbLb1EEEEDaS10_S11_EUlS10_E_NS1_11comp_targetILNS1_3genE8ELNS1_11target_archE1030ELNS1_3gpuE2ELNS1_3repE0EEENS1_30default_config_static_selectorELNS0_4arch9wavefront6targetE1EEEvT1_
	.p2align	8
	.type	_ZN7rocprim17ROCPRIM_400000_NS6detail17trampoline_kernelINS0_14default_configENS1_27scan_by_key_config_selectorImiEEZZNS1_16scan_by_key_implILNS1_25lookback_scan_determinismE0ELb0ES3_N6thrust23THRUST_200600_302600_NS18transform_iteratorI9row_indexNS9_17counting_iteratorImNS9_11use_defaultESD_SD_EESD_SD_EENS9_6detail15normal_iteratorINS9_10device_ptrIiEEEESK_iNS9_4plusIvEENS9_8equal_toIvEEiEE10hipError_tPvRmT2_T3_T4_T5_mT6_T7_P12ihipStream_tbENKUlT_T0_E_clISt17integral_constantIbLb0EES14_IbLb1EEEEDaS10_S11_EUlS10_E_NS1_11comp_targetILNS1_3genE8ELNS1_11target_archE1030ELNS1_3gpuE2ELNS1_3repE0EEENS1_30default_config_static_selectorELNS0_4arch9wavefront6targetE1EEEvT1_,@function
_ZN7rocprim17ROCPRIM_400000_NS6detail17trampoline_kernelINS0_14default_configENS1_27scan_by_key_config_selectorImiEEZZNS1_16scan_by_key_implILNS1_25lookback_scan_determinismE0ELb0ES3_N6thrust23THRUST_200600_302600_NS18transform_iteratorI9row_indexNS9_17counting_iteratorImNS9_11use_defaultESD_SD_EESD_SD_EENS9_6detail15normal_iteratorINS9_10device_ptrIiEEEESK_iNS9_4plusIvEENS9_8equal_toIvEEiEE10hipError_tPvRmT2_T3_T4_T5_mT6_T7_P12ihipStream_tbENKUlT_T0_E_clISt17integral_constantIbLb0EES14_IbLb1EEEEDaS10_S11_EUlS10_E_NS1_11comp_targetILNS1_3genE8ELNS1_11target_archE1030ELNS1_3gpuE2ELNS1_3repE0EEENS1_30default_config_static_selectorELNS0_4arch9wavefront6targetE1EEEvT1_: ; @_ZN7rocprim17ROCPRIM_400000_NS6detail17trampoline_kernelINS0_14default_configENS1_27scan_by_key_config_selectorImiEEZZNS1_16scan_by_key_implILNS1_25lookback_scan_determinismE0ELb0ES3_N6thrust23THRUST_200600_302600_NS18transform_iteratorI9row_indexNS9_17counting_iteratorImNS9_11use_defaultESD_SD_EESD_SD_EENS9_6detail15normal_iteratorINS9_10device_ptrIiEEEESK_iNS9_4plusIvEENS9_8equal_toIvEEiEE10hipError_tPvRmT2_T3_T4_T5_mT6_T7_P12ihipStream_tbENKUlT_T0_E_clISt17integral_constantIbLb0EES14_IbLb1EEEEDaS10_S11_EUlS10_E_NS1_11comp_targetILNS1_3genE8ELNS1_11target_archE1030ELNS1_3gpuE2ELNS1_3repE0EEENS1_30default_config_static_selectorELNS0_4arch9wavefront6targetE1EEEvT1_
; %bb.0:
	.section	.rodata,"a",@progbits
	.p2align	6, 0x0
	.amdhsa_kernel _ZN7rocprim17ROCPRIM_400000_NS6detail17trampoline_kernelINS0_14default_configENS1_27scan_by_key_config_selectorImiEEZZNS1_16scan_by_key_implILNS1_25lookback_scan_determinismE0ELb0ES3_N6thrust23THRUST_200600_302600_NS18transform_iteratorI9row_indexNS9_17counting_iteratorImNS9_11use_defaultESD_SD_EESD_SD_EENS9_6detail15normal_iteratorINS9_10device_ptrIiEEEESK_iNS9_4plusIvEENS9_8equal_toIvEEiEE10hipError_tPvRmT2_T3_T4_T5_mT6_T7_P12ihipStream_tbENKUlT_T0_E_clISt17integral_constantIbLb0EES14_IbLb1EEEEDaS10_S11_EUlS10_E_NS1_11comp_targetILNS1_3genE8ELNS1_11target_archE1030ELNS1_3gpuE2ELNS1_3repE0EEENS1_30default_config_static_selectorELNS0_4arch9wavefront6targetE1EEEvT1_
		.amdhsa_group_segment_fixed_size 0
		.amdhsa_private_segment_fixed_size 0
		.amdhsa_kernarg_size 120
		.amdhsa_user_sgpr_count 6
		.amdhsa_user_sgpr_private_segment_buffer 1
		.amdhsa_user_sgpr_dispatch_ptr 0
		.amdhsa_user_sgpr_queue_ptr 0
		.amdhsa_user_sgpr_kernarg_segment_ptr 1
		.amdhsa_user_sgpr_dispatch_id 0
		.amdhsa_user_sgpr_flat_scratch_init 0
		.amdhsa_user_sgpr_private_segment_size 0
		.amdhsa_uses_dynamic_stack 0
		.amdhsa_system_sgpr_private_segment_wavefront_offset 0
		.amdhsa_system_sgpr_workgroup_id_x 1
		.amdhsa_system_sgpr_workgroup_id_y 0
		.amdhsa_system_sgpr_workgroup_id_z 0
		.amdhsa_system_sgpr_workgroup_info 0
		.amdhsa_system_vgpr_workitem_id 0
		.amdhsa_next_free_vgpr 1
		.amdhsa_next_free_sgpr 0
		.amdhsa_reserve_vcc 0
		.amdhsa_reserve_flat_scratch 0
		.amdhsa_float_round_mode_32 0
		.amdhsa_float_round_mode_16_64 0
		.amdhsa_float_denorm_mode_32 3
		.amdhsa_float_denorm_mode_16_64 3
		.amdhsa_dx10_clamp 1
		.amdhsa_ieee_mode 1
		.amdhsa_fp16_overflow 0
		.amdhsa_exception_fp_ieee_invalid_op 0
		.amdhsa_exception_fp_denorm_src 0
		.amdhsa_exception_fp_ieee_div_zero 0
		.amdhsa_exception_fp_ieee_overflow 0
		.amdhsa_exception_fp_ieee_underflow 0
		.amdhsa_exception_fp_ieee_inexact 0
		.amdhsa_exception_int_div_zero 0
	.end_amdhsa_kernel
	.section	.text._ZN7rocprim17ROCPRIM_400000_NS6detail17trampoline_kernelINS0_14default_configENS1_27scan_by_key_config_selectorImiEEZZNS1_16scan_by_key_implILNS1_25lookback_scan_determinismE0ELb0ES3_N6thrust23THRUST_200600_302600_NS18transform_iteratorI9row_indexNS9_17counting_iteratorImNS9_11use_defaultESD_SD_EESD_SD_EENS9_6detail15normal_iteratorINS9_10device_ptrIiEEEESK_iNS9_4plusIvEENS9_8equal_toIvEEiEE10hipError_tPvRmT2_T3_T4_T5_mT6_T7_P12ihipStream_tbENKUlT_T0_E_clISt17integral_constantIbLb0EES14_IbLb1EEEEDaS10_S11_EUlS10_E_NS1_11comp_targetILNS1_3genE8ELNS1_11target_archE1030ELNS1_3gpuE2ELNS1_3repE0EEENS1_30default_config_static_selectorELNS0_4arch9wavefront6targetE1EEEvT1_,"axG",@progbits,_ZN7rocprim17ROCPRIM_400000_NS6detail17trampoline_kernelINS0_14default_configENS1_27scan_by_key_config_selectorImiEEZZNS1_16scan_by_key_implILNS1_25lookback_scan_determinismE0ELb0ES3_N6thrust23THRUST_200600_302600_NS18transform_iteratorI9row_indexNS9_17counting_iteratorImNS9_11use_defaultESD_SD_EESD_SD_EENS9_6detail15normal_iteratorINS9_10device_ptrIiEEEESK_iNS9_4plusIvEENS9_8equal_toIvEEiEE10hipError_tPvRmT2_T3_T4_T5_mT6_T7_P12ihipStream_tbENKUlT_T0_E_clISt17integral_constantIbLb0EES14_IbLb1EEEEDaS10_S11_EUlS10_E_NS1_11comp_targetILNS1_3genE8ELNS1_11target_archE1030ELNS1_3gpuE2ELNS1_3repE0EEENS1_30default_config_static_selectorELNS0_4arch9wavefront6targetE1EEEvT1_,comdat
.Lfunc_end44:
	.size	_ZN7rocprim17ROCPRIM_400000_NS6detail17trampoline_kernelINS0_14default_configENS1_27scan_by_key_config_selectorImiEEZZNS1_16scan_by_key_implILNS1_25lookback_scan_determinismE0ELb0ES3_N6thrust23THRUST_200600_302600_NS18transform_iteratorI9row_indexNS9_17counting_iteratorImNS9_11use_defaultESD_SD_EESD_SD_EENS9_6detail15normal_iteratorINS9_10device_ptrIiEEEESK_iNS9_4plusIvEENS9_8equal_toIvEEiEE10hipError_tPvRmT2_T3_T4_T5_mT6_T7_P12ihipStream_tbENKUlT_T0_E_clISt17integral_constantIbLb0EES14_IbLb1EEEEDaS10_S11_EUlS10_E_NS1_11comp_targetILNS1_3genE8ELNS1_11target_archE1030ELNS1_3gpuE2ELNS1_3repE0EEENS1_30default_config_static_selectorELNS0_4arch9wavefront6targetE1EEEvT1_, .Lfunc_end44-_ZN7rocprim17ROCPRIM_400000_NS6detail17trampoline_kernelINS0_14default_configENS1_27scan_by_key_config_selectorImiEEZZNS1_16scan_by_key_implILNS1_25lookback_scan_determinismE0ELb0ES3_N6thrust23THRUST_200600_302600_NS18transform_iteratorI9row_indexNS9_17counting_iteratorImNS9_11use_defaultESD_SD_EESD_SD_EENS9_6detail15normal_iteratorINS9_10device_ptrIiEEEESK_iNS9_4plusIvEENS9_8equal_toIvEEiEE10hipError_tPvRmT2_T3_T4_T5_mT6_T7_P12ihipStream_tbENKUlT_T0_E_clISt17integral_constantIbLb0EES14_IbLb1EEEEDaS10_S11_EUlS10_E_NS1_11comp_targetILNS1_3genE8ELNS1_11target_archE1030ELNS1_3gpuE2ELNS1_3repE0EEENS1_30default_config_static_selectorELNS0_4arch9wavefront6targetE1EEEvT1_
                                        ; -- End function
	.set _ZN7rocprim17ROCPRIM_400000_NS6detail17trampoline_kernelINS0_14default_configENS1_27scan_by_key_config_selectorImiEEZZNS1_16scan_by_key_implILNS1_25lookback_scan_determinismE0ELb0ES3_N6thrust23THRUST_200600_302600_NS18transform_iteratorI9row_indexNS9_17counting_iteratorImNS9_11use_defaultESD_SD_EESD_SD_EENS9_6detail15normal_iteratorINS9_10device_ptrIiEEEESK_iNS9_4plusIvEENS9_8equal_toIvEEiEE10hipError_tPvRmT2_T3_T4_T5_mT6_T7_P12ihipStream_tbENKUlT_T0_E_clISt17integral_constantIbLb0EES14_IbLb1EEEEDaS10_S11_EUlS10_E_NS1_11comp_targetILNS1_3genE8ELNS1_11target_archE1030ELNS1_3gpuE2ELNS1_3repE0EEENS1_30default_config_static_selectorELNS0_4arch9wavefront6targetE1EEEvT1_.num_vgpr, 0
	.set _ZN7rocprim17ROCPRIM_400000_NS6detail17trampoline_kernelINS0_14default_configENS1_27scan_by_key_config_selectorImiEEZZNS1_16scan_by_key_implILNS1_25lookback_scan_determinismE0ELb0ES3_N6thrust23THRUST_200600_302600_NS18transform_iteratorI9row_indexNS9_17counting_iteratorImNS9_11use_defaultESD_SD_EESD_SD_EENS9_6detail15normal_iteratorINS9_10device_ptrIiEEEESK_iNS9_4plusIvEENS9_8equal_toIvEEiEE10hipError_tPvRmT2_T3_T4_T5_mT6_T7_P12ihipStream_tbENKUlT_T0_E_clISt17integral_constantIbLb0EES14_IbLb1EEEEDaS10_S11_EUlS10_E_NS1_11comp_targetILNS1_3genE8ELNS1_11target_archE1030ELNS1_3gpuE2ELNS1_3repE0EEENS1_30default_config_static_selectorELNS0_4arch9wavefront6targetE1EEEvT1_.num_agpr, 0
	.set _ZN7rocprim17ROCPRIM_400000_NS6detail17trampoline_kernelINS0_14default_configENS1_27scan_by_key_config_selectorImiEEZZNS1_16scan_by_key_implILNS1_25lookback_scan_determinismE0ELb0ES3_N6thrust23THRUST_200600_302600_NS18transform_iteratorI9row_indexNS9_17counting_iteratorImNS9_11use_defaultESD_SD_EESD_SD_EENS9_6detail15normal_iteratorINS9_10device_ptrIiEEEESK_iNS9_4plusIvEENS9_8equal_toIvEEiEE10hipError_tPvRmT2_T3_T4_T5_mT6_T7_P12ihipStream_tbENKUlT_T0_E_clISt17integral_constantIbLb0EES14_IbLb1EEEEDaS10_S11_EUlS10_E_NS1_11comp_targetILNS1_3genE8ELNS1_11target_archE1030ELNS1_3gpuE2ELNS1_3repE0EEENS1_30default_config_static_selectorELNS0_4arch9wavefront6targetE1EEEvT1_.numbered_sgpr, 0
	.set _ZN7rocprim17ROCPRIM_400000_NS6detail17trampoline_kernelINS0_14default_configENS1_27scan_by_key_config_selectorImiEEZZNS1_16scan_by_key_implILNS1_25lookback_scan_determinismE0ELb0ES3_N6thrust23THRUST_200600_302600_NS18transform_iteratorI9row_indexNS9_17counting_iteratorImNS9_11use_defaultESD_SD_EESD_SD_EENS9_6detail15normal_iteratorINS9_10device_ptrIiEEEESK_iNS9_4plusIvEENS9_8equal_toIvEEiEE10hipError_tPvRmT2_T3_T4_T5_mT6_T7_P12ihipStream_tbENKUlT_T0_E_clISt17integral_constantIbLb0EES14_IbLb1EEEEDaS10_S11_EUlS10_E_NS1_11comp_targetILNS1_3genE8ELNS1_11target_archE1030ELNS1_3gpuE2ELNS1_3repE0EEENS1_30default_config_static_selectorELNS0_4arch9wavefront6targetE1EEEvT1_.num_named_barrier, 0
	.set _ZN7rocprim17ROCPRIM_400000_NS6detail17trampoline_kernelINS0_14default_configENS1_27scan_by_key_config_selectorImiEEZZNS1_16scan_by_key_implILNS1_25lookback_scan_determinismE0ELb0ES3_N6thrust23THRUST_200600_302600_NS18transform_iteratorI9row_indexNS9_17counting_iteratorImNS9_11use_defaultESD_SD_EESD_SD_EENS9_6detail15normal_iteratorINS9_10device_ptrIiEEEESK_iNS9_4plusIvEENS9_8equal_toIvEEiEE10hipError_tPvRmT2_T3_T4_T5_mT6_T7_P12ihipStream_tbENKUlT_T0_E_clISt17integral_constantIbLb0EES14_IbLb1EEEEDaS10_S11_EUlS10_E_NS1_11comp_targetILNS1_3genE8ELNS1_11target_archE1030ELNS1_3gpuE2ELNS1_3repE0EEENS1_30default_config_static_selectorELNS0_4arch9wavefront6targetE1EEEvT1_.private_seg_size, 0
	.set _ZN7rocprim17ROCPRIM_400000_NS6detail17trampoline_kernelINS0_14default_configENS1_27scan_by_key_config_selectorImiEEZZNS1_16scan_by_key_implILNS1_25lookback_scan_determinismE0ELb0ES3_N6thrust23THRUST_200600_302600_NS18transform_iteratorI9row_indexNS9_17counting_iteratorImNS9_11use_defaultESD_SD_EESD_SD_EENS9_6detail15normal_iteratorINS9_10device_ptrIiEEEESK_iNS9_4plusIvEENS9_8equal_toIvEEiEE10hipError_tPvRmT2_T3_T4_T5_mT6_T7_P12ihipStream_tbENKUlT_T0_E_clISt17integral_constantIbLb0EES14_IbLb1EEEEDaS10_S11_EUlS10_E_NS1_11comp_targetILNS1_3genE8ELNS1_11target_archE1030ELNS1_3gpuE2ELNS1_3repE0EEENS1_30default_config_static_selectorELNS0_4arch9wavefront6targetE1EEEvT1_.uses_vcc, 0
	.set _ZN7rocprim17ROCPRIM_400000_NS6detail17trampoline_kernelINS0_14default_configENS1_27scan_by_key_config_selectorImiEEZZNS1_16scan_by_key_implILNS1_25lookback_scan_determinismE0ELb0ES3_N6thrust23THRUST_200600_302600_NS18transform_iteratorI9row_indexNS9_17counting_iteratorImNS9_11use_defaultESD_SD_EESD_SD_EENS9_6detail15normal_iteratorINS9_10device_ptrIiEEEESK_iNS9_4plusIvEENS9_8equal_toIvEEiEE10hipError_tPvRmT2_T3_T4_T5_mT6_T7_P12ihipStream_tbENKUlT_T0_E_clISt17integral_constantIbLb0EES14_IbLb1EEEEDaS10_S11_EUlS10_E_NS1_11comp_targetILNS1_3genE8ELNS1_11target_archE1030ELNS1_3gpuE2ELNS1_3repE0EEENS1_30default_config_static_selectorELNS0_4arch9wavefront6targetE1EEEvT1_.uses_flat_scratch, 0
	.set _ZN7rocprim17ROCPRIM_400000_NS6detail17trampoline_kernelINS0_14default_configENS1_27scan_by_key_config_selectorImiEEZZNS1_16scan_by_key_implILNS1_25lookback_scan_determinismE0ELb0ES3_N6thrust23THRUST_200600_302600_NS18transform_iteratorI9row_indexNS9_17counting_iteratorImNS9_11use_defaultESD_SD_EESD_SD_EENS9_6detail15normal_iteratorINS9_10device_ptrIiEEEESK_iNS9_4plusIvEENS9_8equal_toIvEEiEE10hipError_tPvRmT2_T3_T4_T5_mT6_T7_P12ihipStream_tbENKUlT_T0_E_clISt17integral_constantIbLb0EES14_IbLb1EEEEDaS10_S11_EUlS10_E_NS1_11comp_targetILNS1_3genE8ELNS1_11target_archE1030ELNS1_3gpuE2ELNS1_3repE0EEENS1_30default_config_static_selectorELNS0_4arch9wavefront6targetE1EEEvT1_.has_dyn_sized_stack, 0
	.set _ZN7rocprim17ROCPRIM_400000_NS6detail17trampoline_kernelINS0_14default_configENS1_27scan_by_key_config_selectorImiEEZZNS1_16scan_by_key_implILNS1_25lookback_scan_determinismE0ELb0ES3_N6thrust23THRUST_200600_302600_NS18transform_iteratorI9row_indexNS9_17counting_iteratorImNS9_11use_defaultESD_SD_EESD_SD_EENS9_6detail15normal_iteratorINS9_10device_ptrIiEEEESK_iNS9_4plusIvEENS9_8equal_toIvEEiEE10hipError_tPvRmT2_T3_T4_T5_mT6_T7_P12ihipStream_tbENKUlT_T0_E_clISt17integral_constantIbLb0EES14_IbLb1EEEEDaS10_S11_EUlS10_E_NS1_11comp_targetILNS1_3genE8ELNS1_11target_archE1030ELNS1_3gpuE2ELNS1_3repE0EEENS1_30default_config_static_selectorELNS0_4arch9wavefront6targetE1EEEvT1_.has_recursion, 0
	.set _ZN7rocprim17ROCPRIM_400000_NS6detail17trampoline_kernelINS0_14default_configENS1_27scan_by_key_config_selectorImiEEZZNS1_16scan_by_key_implILNS1_25lookback_scan_determinismE0ELb0ES3_N6thrust23THRUST_200600_302600_NS18transform_iteratorI9row_indexNS9_17counting_iteratorImNS9_11use_defaultESD_SD_EESD_SD_EENS9_6detail15normal_iteratorINS9_10device_ptrIiEEEESK_iNS9_4plusIvEENS9_8equal_toIvEEiEE10hipError_tPvRmT2_T3_T4_T5_mT6_T7_P12ihipStream_tbENKUlT_T0_E_clISt17integral_constantIbLb0EES14_IbLb1EEEEDaS10_S11_EUlS10_E_NS1_11comp_targetILNS1_3genE8ELNS1_11target_archE1030ELNS1_3gpuE2ELNS1_3repE0EEENS1_30default_config_static_selectorELNS0_4arch9wavefront6targetE1EEEvT1_.has_indirect_call, 0
	.section	.AMDGPU.csdata,"",@progbits
; Kernel info:
; codeLenInByte = 0
; TotalNumSgprs: 4
; NumVgprs: 0
; ScratchSize: 0
; MemoryBound: 0
; FloatMode: 240
; IeeeMode: 1
; LDSByteSize: 0 bytes/workgroup (compile time only)
; SGPRBlocks: 0
; VGPRBlocks: 0
; NumSGPRsForWavesPerEU: 4
; NumVGPRsForWavesPerEU: 1
; Occupancy: 10
; WaveLimiterHint : 0
; COMPUTE_PGM_RSRC2:SCRATCH_EN: 0
; COMPUTE_PGM_RSRC2:USER_SGPR: 6
; COMPUTE_PGM_RSRC2:TRAP_HANDLER: 0
; COMPUTE_PGM_RSRC2:TGID_X_EN: 1
; COMPUTE_PGM_RSRC2:TGID_Y_EN: 0
; COMPUTE_PGM_RSRC2:TGID_Z_EN: 0
; COMPUTE_PGM_RSRC2:TIDIG_COMP_CNT: 0
	.section	.text._ZN6thrust23THRUST_200600_302600_NS11hip_rocprim14__parallel_for6kernelILj256ENS1_11__transform17unary_transform_fINS0_20permutation_iteratorINS0_6detail15normal_iteratorINS0_10device_ptrIiEEEENS0_18transform_iteratorI15transpose_indexNS0_17counting_iteratorImNS0_11use_defaultESF_SF_EESF_SF_EEEESB_NS4_14no_stencil_tagENS1_8identityENS4_21always_true_predicateEEExLj1EEEvT0_T1_SO_,"axG",@progbits,_ZN6thrust23THRUST_200600_302600_NS11hip_rocprim14__parallel_for6kernelILj256ENS1_11__transform17unary_transform_fINS0_20permutation_iteratorINS0_6detail15normal_iteratorINS0_10device_ptrIiEEEENS0_18transform_iteratorI15transpose_indexNS0_17counting_iteratorImNS0_11use_defaultESF_SF_EESF_SF_EEEESB_NS4_14no_stencil_tagENS1_8identityENS4_21always_true_predicateEEExLj1EEEvT0_T1_SO_,comdat
	.protected	_ZN6thrust23THRUST_200600_302600_NS11hip_rocprim14__parallel_for6kernelILj256ENS1_11__transform17unary_transform_fINS0_20permutation_iteratorINS0_6detail15normal_iteratorINS0_10device_ptrIiEEEENS0_18transform_iteratorI15transpose_indexNS0_17counting_iteratorImNS0_11use_defaultESF_SF_EESF_SF_EEEESB_NS4_14no_stencil_tagENS1_8identityENS4_21always_true_predicateEEExLj1EEEvT0_T1_SO_ ; -- Begin function _ZN6thrust23THRUST_200600_302600_NS11hip_rocprim14__parallel_for6kernelILj256ENS1_11__transform17unary_transform_fINS0_20permutation_iteratorINS0_6detail15normal_iteratorINS0_10device_ptrIiEEEENS0_18transform_iteratorI15transpose_indexNS0_17counting_iteratorImNS0_11use_defaultESF_SF_EESF_SF_EEEESB_NS4_14no_stencil_tagENS1_8identityENS4_21always_true_predicateEEExLj1EEEvT0_T1_SO_
	.globl	_ZN6thrust23THRUST_200600_302600_NS11hip_rocprim14__parallel_for6kernelILj256ENS1_11__transform17unary_transform_fINS0_20permutation_iteratorINS0_6detail15normal_iteratorINS0_10device_ptrIiEEEENS0_18transform_iteratorI15transpose_indexNS0_17counting_iteratorImNS0_11use_defaultESF_SF_EESF_SF_EEEESB_NS4_14no_stencil_tagENS1_8identityENS4_21always_true_predicateEEExLj1EEEvT0_T1_SO_
	.p2align	8
	.type	_ZN6thrust23THRUST_200600_302600_NS11hip_rocprim14__parallel_for6kernelILj256ENS1_11__transform17unary_transform_fINS0_20permutation_iteratorINS0_6detail15normal_iteratorINS0_10device_ptrIiEEEENS0_18transform_iteratorI15transpose_indexNS0_17counting_iteratorImNS0_11use_defaultESF_SF_EESF_SF_EEEESB_NS4_14no_stencil_tagENS1_8identityENS4_21always_true_predicateEEExLj1EEEvT0_T1_SO_,@function
_ZN6thrust23THRUST_200600_302600_NS11hip_rocprim14__parallel_for6kernelILj256ENS1_11__transform17unary_transform_fINS0_20permutation_iteratorINS0_6detail15normal_iteratorINS0_10device_ptrIiEEEENS0_18transform_iteratorI15transpose_indexNS0_17counting_iteratorImNS0_11use_defaultESF_SF_EESF_SF_EEEESB_NS4_14no_stencil_tagENS1_8identityENS4_21always_true_predicateEEExLj1EEEvT0_T1_SO_: ; @_ZN6thrust23THRUST_200600_302600_NS11hip_rocprim14__parallel_for6kernelILj256ENS1_11__transform17unary_transform_fINS0_20permutation_iteratorINS0_6detail15normal_iteratorINS0_10device_ptrIiEEEENS0_18transform_iteratorI15transpose_indexNS0_17counting_iteratorImNS0_11use_defaultESF_SF_EESF_SF_EEEESB_NS4_14no_stencil_tagENS1_8identityENS4_21always_true_predicateEEExLj1EEEvT0_T1_SO_
; %bb.0:
	s_load_dwordx4 s[8:11], s[4:5], 0x30
	s_load_dwordx2 s[2:3], s[4:5], 0x20
	s_lshl_b32 s0, s6, 8
	v_mov_b32_e32 v1, 0x100
	v_mov_b32_e32 v2, 0
	s_waitcnt lgkmcnt(0)
	s_add_u32 s16, s10, s0
	s_addc_u32 s17, s11, 0
	s_sub_u32 s0, s8, s16
	s_subb_u32 s1, s9, s17
	v_cmp_lt_i64_e32 vcc, s[0:1], v[1:2]
	s_load_dwordx8 s[8:15], s[4:5], 0x0
	s_and_b64 s[4:5], vcc, exec
	s_cselect_b32 s4, s0, 0x100
	s_cmpk_eq_i32 s4, 0x100
	s_mov_b64 s[0:1], -1
	s_cbranch_scc0 .LBB45_3
; %bb.1:
	s_andn2_b64 vcc, exec, s[0:1]
	s_cbranch_vccz .LBB45_10
.LBB45_2:
	s_endpgm
.LBB45_3:
	v_cmp_gt_u32_e32 vcc, s4, v0
	s_and_saveexec_b64 s[4:5], vcc
	s_cbranch_execz .LBB45_9
; %bb.4:
	v_mov_b32_e32 v2, s17
	v_add_co_u32_e32 v1, vcc, s16, v0
	v_addc_co_u32_e32 v2, vcc, 0, v2, vcc
	s_waitcnt lgkmcnt(0)
	v_mov_b32_e32 v4, s9
	v_add_co_u32_e32 v5, vcc, s8, v1
	v_addc_co_u32_e32 v6, vcc, v4, v2, vcc
	v_mov_b32_e32 v3, 0
	v_or_b32_e32 v4, s13, v6
	v_cmp_ne_u64_e32 vcc, 0, v[3:4]
                                        ; implicit-def: $vgpr3_vgpr4
	s_and_saveexec_b64 s[0:1], vcc
	s_xor_b64 s[6:7], exec, s[0:1]
	s_cbranch_execz .LBB45_6
; %bb.5:
	v_cvt_f32_u32_e32 v3, s12
	v_cvt_f32_u32_e32 v4, s13
	s_sub_u32 s18, 0, s12
	s_subb_u32 s19, 0, s13
	v_madmk_f32 v3, v4, 0x4f800000, v3
	v_rcp_f32_e32 v3, v3
	v_mul_f32_e32 v3, 0x5f7ffffc, v3
	v_mul_f32_e32 v4, 0x2f800000, v3
	v_trunc_f32_e32 v4, v4
	v_madmk_f32 v3, v4, 0xcf800000, v3
	v_cvt_u32_f32_e32 v4, v4
	v_cvt_u32_f32_e32 v3, v3
	v_readfirstlane_b32 s20, v4
	v_readfirstlane_b32 s0, v3
	s_mul_i32 s1, s18, s20
	s_mul_hi_u32 s22, s18, s0
	s_mul_i32 s21, s19, s0
	s_add_i32 s1, s22, s1
	s_mul_i32 s23, s18, s0
	s_add_i32 s1, s1, s21
	s_mul_i32 s22, s0, s1
	s_mul_hi_u32 s24, s0, s23
	s_mul_hi_u32 s21, s0, s1
	s_add_u32 s22, s24, s22
	s_addc_u32 s21, 0, s21
	s_mul_hi_u32 s25, s20, s23
	s_mul_i32 s23, s20, s23
	s_add_u32 s22, s22, s23
	s_mul_hi_u32 s24, s20, s1
	s_addc_u32 s21, s21, s25
	s_addc_u32 s22, s24, 0
	s_mul_i32 s1, s20, s1
	s_add_u32 s1, s21, s1
	s_addc_u32 s21, 0, s22
	s_add_u32 s22, s0, s1
	s_cselect_b64 s[0:1], -1, 0
	s_cmp_lg_u64 s[0:1], 0
	s_addc_u32 s20, s20, s21
	s_mul_i32 s0, s18, s20
	s_mul_hi_u32 s1, s18, s22
	s_add_i32 s0, s1, s0
	s_mul_i32 s19, s19, s22
	s_add_i32 s0, s0, s19
	s_mul_i32 s18, s18, s22
	s_mul_hi_u32 s19, s20, s18
	s_mul_i32 s21, s20, s18
	s_mul_i32 s24, s22, s0
	s_mul_hi_u32 s18, s22, s18
	s_mul_hi_u32 s23, s22, s0
	s_add_u32 s18, s18, s24
	s_addc_u32 s23, 0, s23
	s_add_u32 s18, s18, s21
	s_mul_hi_u32 s1, s20, s0
	s_addc_u32 s18, s23, s19
	s_addc_u32 s1, s1, 0
	s_mul_i32 s0, s20, s0
	s_add_u32 s0, s18, s0
	s_addc_u32 s18, 0, s1
	s_add_u32 s19, s22, s0
	s_cselect_b64 s[0:1], -1, 0
	s_cmp_lg_u64 s[0:1], 0
	s_addc_u32 s18, s20, s18
	v_mad_u64_u32 v[3:4], s[0:1], v5, s18, 0
	v_mul_hi_u32 v7, v5, s19
	v_add_co_u32_e32 v9, vcc, v7, v3
	v_addc_co_u32_e32 v10, vcc, 0, v4, vcc
	v_mad_u64_u32 v[3:4], s[0:1], v6, s19, 0
	v_mad_u64_u32 v[7:8], s[0:1], v6, s18, 0
	v_add_co_u32_e32 v3, vcc, v9, v3
	v_addc_co_u32_e32 v3, vcc, v10, v4, vcc
	v_addc_co_u32_e32 v4, vcc, 0, v8, vcc
	v_add_co_u32_e32 v7, vcc, v3, v7
	v_addc_co_u32_e32 v8, vcc, 0, v4, vcc
	v_mul_lo_u32 v9, s13, v7
	v_mul_lo_u32 v10, s12, v8
	v_mad_u64_u32 v[3:4], s[0:1], s12, v7, 0
	v_add3_u32 v4, v4, v10, v9
	v_sub_u32_e32 v9, v6, v4
	v_mov_b32_e32 v10, s13
	v_sub_co_u32_e32 v3, vcc, v5, v3
	v_subb_co_u32_e64 v9, s[0:1], v9, v10, vcc
	v_subrev_co_u32_e64 v10, s[0:1], s12, v3
	v_subbrev_co_u32_e64 v9, s[0:1], 0, v9, s[0:1]
	v_cmp_le_u32_e64 s[0:1], s13, v9
	v_cndmask_b32_e64 v11, 0, -1, s[0:1]
	v_cmp_le_u32_e64 s[0:1], s12, v10
	v_cndmask_b32_e64 v10, 0, -1, s[0:1]
	v_cmp_eq_u32_e64 s[0:1], s13, v9
	v_cndmask_b32_e64 v9, v11, v10, s[0:1]
	v_add_co_u32_e64 v10, s[0:1], 2, v7
	v_addc_co_u32_e64 v11, s[0:1], 0, v8, s[0:1]
	v_add_co_u32_e64 v12, s[0:1], 1, v7
	v_addc_co_u32_e64 v13, s[0:1], 0, v8, s[0:1]
	v_subb_co_u32_e32 v4, vcc, v6, v4, vcc
	v_cmp_ne_u32_e64 s[0:1], 0, v9
	v_cmp_le_u32_e32 vcc, s13, v4
	v_cndmask_b32_e64 v9, v13, v11, s[0:1]
	v_cndmask_b32_e64 v11, 0, -1, vcc
	v_cmp_le_u32_e32 vcc, s12, v3
	v_cndmask_b32_e64 v3, 0, -1, vcc
	v_cmp_eq_u32_e32 vcc, s13, v4
	v_cndmask_b32_e32 v3, v11, v3, vcc
	v_cmp_ne_u32_e32 vcc, 0, v3
	v_cndmask_b32_e64 v3, v12, v10, s[0:1]
	v_cndmask_b32_e32 v4, v8, v9, vcc
	v_cndmask_b32_e32 v3, v7, v3, vcc
.LBB45_6:
	s_andn2_saveexec_b64 s[0:1], s[6:7]
	s_cbranch_execz .LBB45_8
; %bb.7:
	v_cvt_f32_u32_e32 v3, s12
	s_sub_i32 s6, 0, s12
	v_rcp_iflag_f32_e32 v3, v3
	v_mul_f32_e32 v3, 0x4f7ffffe, v3
	v_cvt_u32_f32_e32 v3, v3
	v_mul_lo_u32 v4, s6, v3
	v_mul_hi_u32 v4, v3, v4
	v_add_u32_e32 v3, v3, v4
	v_mul_hi_u32 v3, v5, v3
	v_mul_lo_u32 v4, v3, s12
	v_add_u32_e32 v7, 1, v3
	v_sub_u32_e32 v4, v5, v4
	v_subrev_u32_e32 v8, s12, v4
	v_cmp_le_u32_e32 vcc, s12, v4
	v_cndmask_b32_e32 v4, v4, v8, vcc
	v_cndmask_b32_e32 v3, v3, v7, vcc
	v_add_u32_e32 v7, 1, v3
	v_cmp_le_u32_e32 vcc, s12, v4
	v_cndmask_b32_e32 v3, v3, v7, vcc
	v_mov_b32_e32 v4, 0
.LBB45_8:
	s_or_b64 exec, exec, s[0:1]
	v_mul_lo_u32 v9, v4, s12
	v_mul_lo_u32 v10, v3, s13
	v_mad_u64_u32 v[7:8], s[0:1], v3, s12, 0
	v_lshlrev_b64 v[3:4], 2, v[3:4]
	v_lshlrev_b64 v[1:2], 2, v[1:2]
	v_add3_u32 v8, v8, v10, v9
	v_sub_co_u32_e32 v5, vcc, v5, v7
	v_subb_co_u32_e32 v6, vcc, v6, v8, vcc
	v_mul_lo_u32 v7, v6, s10
	v_mul_lo_u32 v8, v5, s11
	v_mad_u64_u32 v[5:6], s[0:1], v5, s10, 0
	v_add3_u32 v6, v6, v8, v7
	v_lshlrev_b64 v[5:6], 2, v[5:6]
	v_mov_b32_e32 v7, s15
	v_add_co_u32_e32 v5, vcc, s14, v5
	v_addc_co_u32_e32 v6, vcc, v7, v6, vcc
	v_add_co_u32_e32 v3, vcc, v5, v3
	v_addc_co_u32_e32 v4, vcc, v6, v4, vcc
	global_load_dword v3, v[3:4], off
	v_mov_b32_e32 v4, s3
	v_add_co_u32_e32 v1, vcc, s2, v1
	v_addc_co_u32_e32 v2, vcc, v4, v2, vcc
	s_waitcnt vmcnt(0)
	flat_store_dword v[1:2], v3
.LBB45_9:
	s_or_b64 exec, exec, s[4:5]
	s_cbranch_execnz .LBB45_2
.LBB45_10:
	v_mov_b32_e32 v1, s17
	v_add_co_u32_e32 v0, vcc, s16, v0
	v_addc_co_u32_e32 v1, vcc, 0, v1, vcc
	s_waitcnt lgkmcnt(0)
	v_mov_b32_e32 v3, s9
	v_add_co_u32_e32 v4, vcc, s8, v0
	v_addc_co_u32_e32 v5, vcc, v3, v1, vcc
	v_mov_b32_e32 v2, 0
	v_or_b32_e32 v3, s13, v5
	v_cmp_ne_u64_e32 vcc, 0, v[2:3]
                                        ; implicit-def: $vgpr2_vgpr3
	s_and_saveexec_b64 s[0:1], vcc
	s_xor_b64 s[4:5], exec, s[0:1]
	s_cbranch_execz .LBB45_12
; %bb.11:
	v_cvt_f32_u32_e32 v2, s12
	v_cvt_f32_u32_e32 v3, s13
	s_sub_u32 s6, 0, s12
	s_subb_u32 s7, 0, s13
	v_madmk_f32 v2, v3, 0x4f800000, v2
	v_rcp_f32_e32 v2, v2
	v_mul_f32_e32 v2, 0x5f7ffffc, v2
	v_mul_f32_e32 v3, 0x2f800000, v2
	v_trunc_f32_e32 v3, v3
	v_madmk_f32 v2, v3, 0xcf800000, v2
	v_cvt_u32_f32_e32 v3, v3
	v_cvt_u32_f32_e32 v2, v2
	v_readfirstlane_b32 s8, v3
	v_readfirstlane_b32 s0, v2
	s_mul_i32 s1, s6, s8
	s_mul_hi_u32 s16, s6, s0
	s_mul_i32 s9, s7, s0
	s_add_i32 s1, s16, s1
	s_mul_i32 s17, s6, s0
	s_add_i32 s1, s1, s9
	s_mul_i32 s16, s0, s1
	s_mul_hi_u32 s18, s0, s17
	s_mul_hi_u32 s9, s0, s1
	s_add_u32 s16, s18, s16
	s_addc_u32 s9, 0, s9
	s_mul_hi_u32 s19, s8, s17
	s_mul_i32 s17, s8, s17
	s_add_u32 s16, s16, s17
	s_mul_hi_u32 s18, s8, s1
	s_addc_u32 s9, s9, s19
	s_addc_u32 s16, s18, 0
	s_mul_i32 s1, s8, s1
	s_add_u32 s1, s9, s1
	s_addc_u32 s9, 0, s16
	s_add_u32 s16, s0, s1
	s_cselect_b64 s[0:1], -1, 0
	s_cmp_lg_u64 s[0:1], 0
	s_addc_u32 s8, s8, s9
	s_mul_i32 s0, s6, s8
	s_mul_hi_u32 s1, s6, s16
	s_add_i32 s0, s1, s0
	s_mul_i32 s7, s7, s16
	s_add_i32 s0, s0, s7
	s_mul_i32 s6, s6, s16
	s_mul_hi_u32 s7, s8, s6
	s_mul_i32 s9, s8, s6
	s_mul_i32 s18, s16, s0
	s_mul_hi_u32 s6, s16, s6
	s_mul_hi_u32 s17, s16, s0
	s_add_u32 s6, s6, s18
	s_addc_u32 s17, 0, s17
	s_add_u32 s6, s6, s9
	s_mul_hi_u32 s1, s8, s0
	s_addc_u32 s6, s17, s7
	s_addc_u32 s1, s1, 0
	s_mul_i32 s0, s8, s0
	s_add_u32 s0, s6, s0
	s_addc_u32 s6, 0, s1
	s_add_u32 s7, s16, s0
	s_cselect_b64 s[0:1], -1, 0
	s_cmp_lg_u64 s[0:1], 0
	s_addc_u32 s6, s8, s6
	v_mad_u64_u32 v[2:3], s[0:1], v4, s6, 0
	v_mul_hi_u32 v6, v4, s7
	v_add_co_u32_e32 v8, vcc, v6, v2
	v_addc_co_u32_e32 v9, vcc, 0, v3, vcc
	v_mad_u64_u32 v[2:3], s[0:1], v5, s7, 0
	v_mad_u64_u32 v[6:7], s[0:1], v5, s6, 0
	v_add_co_u32_e32 v2, vcc, v8, v2
	v_addc_co_u32_e32 v2, vcc, v9, v3, vcc
	v_addc_co_u32_e32 v3, vcc, 0, v7, vcc
	v_add_co_u32_e32 v6, vcc, v2, v6
	v_addc_co_u32_e32 v7, vcc, 0, v3, vcc
	v_mul_lo_u32 v8, s13, v6
	v_mul_lo_u32 v9, s12, v7
	v_mad_u64_u32 v[2:3], s[0:1], s12, v6, 0
	v_add3_u32 v3, v3, v9, v8
	v_sub_u32_e32 v8, v5, v3
	v_mov_b32_e32 v9, s13
	v_sub_co_u32_e32 v2, vcc, v4, v2
	v_subb_co_u32_e64 v8, s[0:1], v8, v9, vcc
	v_subrev_co_u32_e64 v9, s[0:1], s12, v2
	v_subbrev_co_u32_e64 v8, s[0:1], 0, v8, s[0:1]
	v_cmp_le_u32_e64 s[0:1], s13, v8
	v_cndmask_b32_e64 v10, 0, -1, s[0:1]
	v_cmp_le_u32_e64 s[0:1], s12, v9
	v_cndmask_b32_e64 v9, 0, -1, s[0:1]
	v_cmp_eq_u32_e64 s[0:1], s13, v8
	v_cndmask_b32_e64 v8, v10, v9, s[0:1]
	v_add_co_u32_e64 v9, s[0:1], 2, v6
	v_addc_co_u32_e64 v10, s[0:1], 0, v7, s[0:1]
	v_add_co_u32_e64 v11, s[0:1], 1, v6
	v_addc_co_u32_e64 v12, s[0:1], 0, v7, s[0:1]
	v_subb_co_u32_e32 v3, vcc, v5, v3, vcc
	v_cmp_ne_u32_e64 s[0:1], 0, v8
	v_cmp_le_u32_e32 vcc, s13, v3
	v_cndmask_b32_e64 v8, v12, v10, s[0:1]
	v_cndmask_b32_e64 v10, 0, -1, vcc
	v_cmp_le_u32_e32 vcc, s12, v2
	v_cndmask_b32_e64 v2, 0, -1, vcc
	v_cmp_eq_u32_e32 vcc, s13, v3
	v_cndmask_b32_e32 v2, v10, v2, vcc
	v_cmp_ne_u32_e32 vcc, 0, v2
	v_cndmask_b32_e64 v2, v11, v9, s[0:1]
	v_cndmask_b32_e32 v3, v7, v8, vcc
	v_cndmask_b32_e32 v2, v6, v2, vcc
.LBB45_12:
	s_andn2_saveexec_b64 s[0:1], s[4:5]
	s_cbranch_execz .LBB45_14
; %bb.13:
	v_cvt_f32_u32_e32 v2, s12
	s_sub_i32 s4, 0, s12
	v_rcp_iflag_f32_e32 v2, v2
	v_mul_f32_e32 v2, 0x4f7ffffe, v2
	v_cvt_u32_f32_e32 v2, v2
	v_mul_lo_u32 v3, s4, v2
	v_mul_hi_u32 v3, v2, v3
	v_add_u32_e32 v2, v2, v3
	v_mul_hi_u32 v2, v4, v2
	v_mul_lo_u32 v3, v2, s12
	v_add_u32_e32 v6, 1, v2
	v_sub_u32_e32 v3, v4, v3
	v_subrev_u32_e32 v7, s12, v3
	v_cmp_le_u32_e32 vcc, s12, v3
	v_cndmask_b32_e32 v3, v3, v7, vcc
	v_cndmask_b32_e32 v2, v2, v6, vcc
	v_add_u32_e32 v6, 1, v2
	v_cmp_le_u32_e32 vcc, s12, v3
	v_cndmask_b32_e32 v2, v2, v6, vcc
	v_mov_b32_e32 v3, 0
.LBB45_14:
	s_or_b64 exec, exec, s[0:1]
	v_mul_lo_u32 v8, v3, s12
	v_mul_lo_u32 v9, v2, s13
	v_mad_u64_u32 v[6:7], s[0:1], v2, s12, 0
	v_lshlrev_b64 v[2:3], 2, v[2:3]
	v_lshlrev_b64 v[0:1], 2, v[0:1]
	v_add3_u32 v7, v7, v9, v8
	v_sub_co_u32_e32 v4, vcc, v4, v6
	v_subb_co_u32_e32 v5, vcc, v5, v7, vcc
	v_mul_lo_u32 v6, v5, s10
	v_mul_lo_u32 v7, v4, s11
	v_mad_u64_u32 v[4:5], s[0:1], v4, s10, 0
	v_add3_u32 v5, v5, v7, v6
	v_lshlrev_b64 v[4:5], 2, v[4:5]
	v_mov_b32_e32 v6, s15
	v_add_co_u32_e32 v4, vcc, s14, v4
	v_addc_co_u32_e32 v5, vcc, v6, v5, vcc
	v_add_co_u32_e32 v2, vcc, v4, v2
	v_addc_co_u32_e32 v3, vcc, v5, v3, vcc
	global_load_dword v2, v[2:3], off
	v_mov_b32_e32 v3, s3
	v_add_co_u32_e32 v0, vcc, s2, v0
	v_addc_co_u32_e32 v1, vcc, v3, v1, vcc
	s_waitcnt vmcnt(0)
	flat_store_dword v[0:1], v2
	s_endpgm
	.section	.rodata,"a",@progbits
	.p2align	6, 0x0
	.amdhsa_kernel _ZN6thrust23THRUST_200600_302600_NS11hip_rocprim14__parallel_for6kernelILj256ENS1_11__transform17unary_transform_fINS0_20permutation_iteratorINS0_6detail15normal_iteratorINS0_10device_ptrIiEEEENS0_18transform_iteratorI15transpose_indexNS0_17counting_iteratorImNS0_11use_defaultESF_SF_EESF_SF_EEEESB_NS4_14no_stencil_tagENS1_8identityENS4_21always_true_predicateEEExLj1EEEvT0_T1_SO_
		.amdhsa_group_segment_fixed_size 0
		.amdhsa_private_segment_fixed_size 0
		.amdhsa_kernarg_size 64
		.amdhsa_user_sgpr_count 6
		.amdhsa_user_sgpr_private_segment_buffer 1
		.amdhsa_user_sgpr_dispatch_ptr 0
		.amdhsa_user_sgpr_queue_ptr 0
		.amdhsa_user_sgpr_kernarg_segment_ptr 1
		.amdhsa_user_sgpr_dispatch_id 0
		.amdhsa_user_sgpr_flat_scratch_init 0
		.amdhsa_user_sgpr_private_segment_size 0
		.amdhsa_uses_dynamic_stack 0
		.amdhsa_system_sgpr_private_segment_wavefront_offset 0
		.amdhsa_system_sgpr_workgroup_id_x 1
		.amdhsa_system_sgpr_workgroup_id_y 0
		.amdhsa_system_sgpr_workgroup_id_z 0
		.amdhsa_system_sgpr_workgroup_info 0
		.amdhsa_system_vgpr_workitem_id 0
		.amdhsa_next_free_vgpr 14
		.amdhsa_next_free_sgpr 26
		.amdhsa_reserve_vcc 1
		.amdhsa_reserve_flat_scratch 0
		.amdhsa_float_round_mode_32 0
		.amdhsa_float_round_mode_16_64 0
		.amdhsa_float_denorm_mode_32 3
		.amdhsa_float_denorm_mode_16_64 3
		.amdhsa_dx10_clamp 1
		.amdhsa_ieee_mode 1
		.amdhsa_fp16_overflow 0
		.amdhsa_exception_fp_ieee_invalid_op 0
		.amdhsa_exception_fp_denorm_src 0
		.amdhsa_exception_fp_ieee_div_zero 0
		.amdhsa_exception_fp_ieee_overflow 0
		.amdhsa_exception_fp_ieee_underflow 0
		.amdhsa_exception_fp_ieee_inexact 0
		.amdhsa_exception_int_div_zero 0
	.end_amdhsa_kernel
	.section	.text._ZN6thrust23THRUST_200600_302600_NS11hip_rocprim14__parallel_for6kernelILj256ENS1_11__transform17unary_transform_fINS0_20permutation_iteratorINS0_6detail15normal_iteratorINS0_10device_ptrIiEEEENS0_18transform_iteratorI15transpose_indexNS0_17counting_iteratorImNS0_11use_defaultESF_SF_EESF_SF_EEEESB_NS4_14no_stencil_tagENS1_8identityENS4_21always_true_predicateEEExLj1EEEvT0_T1_SO_,"axG",@progbits,_ZN6thrust23THRUST_200600_302600_NS11hip_rocprim14__parallel_for6kernelILj256ENS1_11__transform17unary_transform_fINS0_20permutation_iteratorINS0_6detail15normal_iteratorINS0_10device_ptrIiEEEENS0_18transform_iteratorI15transpose_indexNS0_17counting_iteratorImNS0_11use_defaultESF_SF_EESF_SF_EEEESB_NS4_14no_stencil_tagENS1_8identityENS4_21always_true_predicateEEExLj1EEEvT0_T1_SO_,comdat
.Lfunc_end45:
	.size	_ZN6thrust23THRUST_200600_302600_NS11hip_rocprim14__parallel_for6kernelILj256ENS1_11__transform17unary_transform_fINS0_20permutation_iteratorINS0_6detail15normal_iteratorINS0_10device_ptrIiEEEENS0_18transform_iteratorI15transpose_indexNS0_17counting_iteratorImNS0_11use_defaultESF_SF_EESF_SF_EEEESB_NS4_14no_stencil_tagENS1_8identityENS4_21always_true_predicateEEExLj1EEEvT0_T1_SO_, .Lfunc_end45-_ZN6thrust23THRUST_200600_302600_NS11hip_rocprim14__parallel_for6kernelILj256ENS1_11__transform17unary_transform_fINS0_20permutation_iteratorINS0_6detail15normal_iteratorINS0_10device_ptrIiEEEENS0_18transform_iteratorI15transpose_indexNS0_17counting_iteratorImNS0_11use_defaultESF_SF_EESF_SF_EEEESB_NS4_14no_stencil_tagENS1_8identityENS4_21always_true_predicateEEExLj1EEEvT0_T1_SO_
                                        ; -- End function
	.set _ZN6thrust23THRUST_200600_302600_NS11hip_rocprim14__parallel_for6kernelILj256ENS1_11__transform17unary_transform_fINS0_20permutation_iteratorINS0_6detail15normal_iteratorINS0_10device_ptrIiEEEENS0_18transform_iteratorI15transpose_indexNS0_17counting_iteratorImNS0_11use_defaultESF_SF_EESF_SF_EEEESB_NS4_14no_stencil_tagENS1_8identityENS4_21always_true_predicateEEExLj1EEEvT0_T1_SO_.num_vgpr, 14
	.set _ZN6thrust23THRUST_200600_302600_NS11hip_rocprim14__parallel_for6kernelILj256ENS1_11__transform17unary_transform_fINS0_20permutation_iteratorINS0_6detail15normal_iteratorINS0_10device_ptrIiEEEENS0_18transform_iteratorI15transpose_indexNS0_17counting_iteratorImNS0_11use_defaultESF_SF_EESF_SF_EEEESB_NS4_14no_stencil_tagENS1_8identityENS4_21always_true_predicateEEExLj1EEEvT0_T1_SO_.num_agpr, 0
	.set _ZN6thrust23THRUST_200600_302600_NS11hip_rocprim14__parallel_for6kernelILj256ENS1_11__transform17unary_transform_fINS0_20permutation_iteratorINS0_6detail15normal_iteratorINS0_10device_ptrIiEEEENS0_18transform_iteratorI15transpose_indexNS0_17counting_iteratorImNS0_11use_defaultESF_SF_EESF_SF_EEEESB_NS4_14no_stencil_tagENS1_8identityENS4_21always_true_predicateEEExLj1EEEvT0_T1_SO_.numbered_sgpr, 26
	.set _ZN6thrust23THRUST_200600_302600_NS11hip_rocprim14__parallel_for6kernelILj256ENS1_11__transform17unary_transform_fINS0_20permutation_iteratorINS0_6detail15normal_iteratorINS0_10device_ptrIiEEEENS0_18transform_iteratorI15transpose_indexNS0_17counting_iteratorImNS0_11use_defaultESF_SF_EESF_SF_EEEESB_NS4_14no_stencil_tagENS1_8identityENS4_21always_true_predicateEEExLj1EEEvT0_T1_SO_.num_named_barrier, 0
	.set _ZN6thrust23THRUST_200600_302600_NS11hip_rocprim14__parallel_for6kernelILj256ENS1_11__transform17unary_transform_fINS0_20permutation_iteratorINS0_6detail15normal_iteratorINS0_10device_ptrIiEEEENS0_18transform_iteratorI15transpose_indexNS0_17counting_iteratorImNS0_11use_defaultESF_SF_EESF_SF_EEEESB_NS4_14no_stencil_tagENS1_8identityENS4_21always_true_predicateEEExLj1EEEvT0_T1_SO_.private_seg_size, 0
	.set _ZN6thrust23THRUST_200600_302600_NS11hip_rocprim14__parallel_for6kernelILj256ENS1_11__transform17unary_transform_fINS0_20permutation_iteratorINS0_6detail15normal_iteratorINS0_10device_ptrIiEEEENS0_18transform_iteratorI15transpose_indexNS0_17counting_iteratorImNS0_11use_defaultESF_SF_EESF_SF_EEEESB_NS4_14no_stencil_tagENS1_8identityENS4_21always_true_predicateEEExLj1EEEvT0_T1_SO_.uses_vcc, 1
	.set _ZN6thrust23THRUST_200600_302600_NS11hip_rocprim14__parallel_for6kernelILj256ENS1_11__transform17unary_transform_fINS0_20permutation_iteratorINS0_6detail15normal_iteratorINS0_10device_ptrIiEEEENS0_18transform_iteratorI15transpose_indexNS0_17counting_iteratorImNS0_11use_defaultESF_SF_EESF_SF_EEEESB_NS4_14no_stencil_tagENS1_8identityENS4_21always_true_predicateEEExLj1EEEvT0_T1_SO_.uses_flat_scratch, 0
	.set _ZN6thrust23THRUST_200600_302600_NS11hip_rocprim14__parallel_for6kernelILj256ENS1_11__transform17unary_transform_fINS0_20permutation_iteratorINS0_6detail15normal_iteratorINS0_10device_ptrIiEEEENS0_18transform_iteratorI15transpose_indexNS0_17counting_iteratorImNS0_11use_defaultESF_SF_EESF_SF_EEEESB_NS4_14no_stencil_tagENS1_8identityENS4_21always_true_predicateEEExLj1EEEvT0_T1_SO_.has_dyn_sized_stack, 0
	.set _ZN6thrust23THRUST_200600_302600_NS11hip_rocprim14__parallel_for6kernelILj256ENS1_11__transform17unary_transform_fINS0_20permutation_iteratorINS0_6detail15normal_iteratorINS0_10device_ptrIiEEEENS0_18transform_iteratorI15transpose_indexNS0_17counting_iteratorImNS0_11use_defaultESF_SF_EESF_SF_EEEESB_NS4_14no_stencil_tagENS1_8identityENS4_21always_true_predicateEEExLj1EEEvT0_T1_SO_.has_recursion, 0
	.set _ZN6thrust23THRUST_200600_302600_NS11hip_rocprim14__parallel_for6kernelILj256ENS1_11__transform17unary_transform_fINS0_20permutation_iteratorINS0_6detail15normal_iteratorINS0_10device_ptrIiEEEENS0_18transform_iteratorI15transpose_indexNS0_17counting_iteratorImNS0_11use_defaultESF_SF_EESF_SF_EEEESB_NS4_14no_stencil_tagENS1_8identityENS4_21always_true_predicateEEExLj1EEEvT0_T1_SO_.has_indirect_call, 0
	.section	.AMDGPU.csdata,"",@progbits
; Kernel info:
; codeLenInByte = 1852
; TotalNumSgprs: 30
; NumVgprs: 14
; ScratchSize: 0
; MemoryBound: 0
; FloatMode: 240
; IeeeMode: 1
; LDSByteSize: 0 bytes/workgroup (compile time only)
; SGPRBlocks: 3
; VGPRBlocks: 3
; NumSGPRsForWavesPerEU: 30
; NumVGPRsForWavesPerEU: 14
; Occupancy: 10
; WaveLimiterHint : 0
; COMPUTE_PGM_RSRC2:SCRATCH_EN: 0
; COMPUTE_PGM_RSRC2:USER_SGPR: 6
; COMPUTE_PGM_RSRC2:TRAP_HANDLER: 0
; COMPUTE_PGM_RSRC2:TGID_X_EN: 1
; COMPUTE_PGM_RSRC2:TGID_Y_EN: 0
; COMPUTE_PGM_RSRC2:TGID_Z_EN: 0
; COMPUTE_PGM_RSRC2:TIDIG_COMP_CNT: 0
	.section	.AMDGPU.gpr_maximums,"",@progbits
	.set amdgpu.max_num_vgpr, 0
	.set amdgpu.max_num_agpr, 0
	.set amdgpu.max_num_sgpr, 0
	.section	.AMDGPU.csdata,"",@progbits
	.type	__hip_cuid_3828570597f02f3e,@object ; @__hip_cuid_3828570597f02f3e
	.section	.bss,"aw",@nobits
	.globl	__hip_cuid_3828570597f02f3e
__hip_cuid_3828570597f02f3e:
	.byte	0                               ; 0x0
	.size	__hip_cuid_3828570597f02f3e, 1

	.ident	"AMD clang version 22.0.0git (https://github.com/RadeonOpenCompute/llvm-project roc-7.2.4 26084 f58b06dce1f9c15707c5f808fd002e18c2accf7e)"
	.section	".note.GNU-stack","",@progbits
	.addrsig
	.addrsig_sym __hip_cuid_3828570597f02f3e
	.amdgpu_metadata
---
amdhsa.kernels:
  - .args:
      - .offset:         0
        .size:           16
        .value_kind:     by_value
      - .offset:         16
        .size:           8
        .value_kind:     by_value
      - .offset:         24
        .size:           8
        .value_kind:     by_value
    .group_segment_fixed_size: 0
    .kernarg_segment_align: 8
    .kernarg_segment_size: 32
    .language:       OpenCL C
    .language_version:
      - 2
      - 0
    .max_flat_workgroup_size: 256
    .name:           _ZN6thrust23THRUST_200600_302600_NS11hip_rocprim14__parallel_for6kernelILj256ENS1_20__uninitialized_fill7functorINS0_10device_ptrIiEEiEEmLj1EEEvT0_T1_SA_
    .private_segment_fixed_size: 0
    .sgpr_count:     20
    .sgpr_spill_count: 0
    .symbol:         _ZN6thrust23THRUST_200600_302600_NS11hip_rocprim14__parallel_for6kernelILj256ENS1_20__uninitialized_fill7functorINS0_10device_ptrIiEEiEEmLj1EEEvT0_T1_SA_.kd
    .uniform_work_group_size: 1
    .uses_dynamic_stack: false
    .vgpr_count:     4
    .vgpr_spill_count: 0
    .wavefront_size: 64
  - .args:
      - .address_space:  global
        .offset:         0
        .size:           8
        .value_kind:     global_buffer
      - .offset:         8
        .size:           4
        .value_kind:     by_value
      - .offset:         12
        .size:           4
        .value_kind:     by_value
      - .address_space:  global
        .offset:         16
        .size:           8
        .value_kind:     global_buffer
      - .offset:         24
        .size:           16
        .value_kind:     by_value
      - .actual_access:  write_only
        .address_space:  global
        .offset:         40
        .size:           8
        .value_kind:     global_buffer
      - .offset:         48
        .size:           8
        .value_kind:     by_value
      - .offset:         56
        .size:           4
        .value_kind:     by_value
      - .offset:         60
        .size:           1
        .value_kind:     by_value
      - .offset:         64
        .size:           4
        .value_kind:     hidden_block_count_x
      - .offset:         68
        .size:           4
        .value_kind:     hidden_block_count_y
      - .offset:         72
        .size:           4
        .value_kind:     hidden_block_count_z
      - .offset:         76
        .size:           2
        .value_kind:     hidden_group_size_x
      - .offset:         78
        .size:           2
        .value_kind:     hidden_group_size_y
      - .offset:         80
        .size:           2
        .value_kind:     hidden_group_size_z
      - .offset:         82
        .size:           2
        .value_kind:     hidden_remainder_x
      - .offset:         84
        .size:           2
        .value_kind:     hidden_remainder_y
      - .offset:         86
        .size:           2
        .value_kind:     hidden_remainder_z
      - .offset:         104
        .size:           8
        .value_kind:     hidden_global_offset_x
      - .offset:         112
        .size:           8
        .value_kind:     hidden_global_offset_y
      - .offset:         120
        .size:           8
        .value_kind:     hidden_global_offset_z
      - .offset:         128
        .size:           2
        .value_kind:     hidden_grid_dims
    .group_segment_fixed_size: 0
    .kernarg_segment_align: 8
    .kernarg_segment_size: 320
    .language:       OpenCL C
    .language_version:
      - 2
      - 0
    .max_flat_workgroup_size: 256
    .name:           _ZN7rocprim17ROCPRIM_400000_NS6detail30init_device_scan_by_key_kernelINS1_19lookback_scan_stateINS0_5tupleIJibEEELb0ELb1EEEN6thrust23THRUST_200600_302600_NS18transform_iteratorI9row_indexNS8_17counting_iteratorImNS8_11use_defaultESC_SC_EESC_SC_EEjNS1_16block_id_wrapperIjLb0EEEEEvT_jjPNSH_10value_typeET0_PNSt15iterator_traitsISK_E10value_typeEmT1_T2_
    .private_segment_fixed_size: 0
    .sgpr_count:     27
    .sgpr_spill_count: 0
    .symbol:         _ZN7rocprim17ROCPRIM_400000_NS6detail30init_device_scan_by_key_kernelINS1_19lookback_scan_stateINS0_5tupleIJibEEELb0ELb1EEEN6thrust23THRUST_200600_302600_NS18transform_iteratorI9row_indexNS8_17counting_iteratorImNS8_11use_defaultESC_SC_EESC_SC_EEjNS1_16block_id_wrapperIjLb0EEEEEvT_jjPNSH_10value_typeET0_PNSt15iterator_traitsISK_E10value_typeEmT1_T2_.kd
    .uniform_work_group_size: 1
    .uses_dynamic_stack: false
    .vgpr_count:     18
    .vgpr_spill_count: 0
    .wavefront_size: 64
  - .args:
      - .address_space:  global
        .offset:         0
        .size:           8
        .value_kind:     global_buffer
      - .offset:         8
        .size:           4
        .value_kind:     by_value
      - .offset:         12
        .size:           4
        .value_kind:     by_value
      - .address_space:  global
        .offset:         16
        .size:           8
        .value_kind:     global_buffer
      - .offset:         24
        .size:           1
        .value_kind:     by_value
      - .offset:         32
        .size:           4
        .value_kind:     hidden_block_count_x
      - .offset:         36
        .size:           4
        .value_kind:     hidden_block_count_y
      - .offset:         40
        .size:           4
        .value_kind:     hidden_block_count_z
      - .offset:         44
        .size:           2
        .value_kind:     hidden_group_size_x
      - .offset:         46
        .size:           2
        .value_kind:     hidden_group_size_y
      - .offset:         48
        .size:           2
        .value_kind:     hidden_group_size_z
      - .offset:         50
        .size:           2
        .value_kind:     hidden_remainder_x
      - .offset:         52
        .size:           2
        .value_kind:     hidden_remainder_y
      - .offset:         54
        .size:           2
        .value_kind:     hidden_remainder_z
      - .offset:         72
        .size:           8
        .value_kind:     hidden_global_offset_x
      - .offset:         80
        .size:           8
        .value_kind:     hidden_global_offset_y
      - .offset:         88
        .size:           8
        .value_kind:     hidden_global_offset_z
      - .offset:         96
        .size:           2
        .value_kind:     hidden_grid_dims
    .group_segment_fixed_size: 0
    .kernarg_segment_align: 8
    .kernarg_segment_size: 288
    .language:       OpenCL C
    .language_version:
      - 2
      - 0
    .max_flat_workgroup_size: 256
    .name:           _ZN7rocprim17ROCPRIM_400000_NS6detail30init_device_scan_by_key_kernelINS1_19lookback_scan_stateINS0_5tupleIJibEEELb0ELb1EEENS1_16block_id_wrapperIjLb0EEEEEvT_jjPNS9_10value_typeET0_
    .private_segment_fixed_size: 0
    .sgpr_count:     18
    .sgpr_spill_count: 0
    .symbol:         _ZN7rocprim17ROCPRIM_400000_NS6detail30init_device_scan_by_key_kernelINS1_19lookback_scan_stateINS0_5tupleIJibEEELb0ELb1EEENS1_16block_id_wrapperIjLb0EEEEEvT_jjPNS9_10value_typeET0_.kd
    .uniform_work_group_size: 1
    .uses_dynamic_stack: false
    .vgpr_count:     8
    .vgpr_spill_count: 0
    .wavefront_size: 64
  - .args:
      - .offset:         0
        .size:           120
        .value_kind:     by_value
    .group_segment_fixed_size: 0
    .kernarg_segment_align: 8
    .kernarg_segment_size: 120
    .language:       OpenCL C
    .language_version:
      - 2
      - 0
    .max_flat_workgroup_size: 256
    .name:           _ZN7rocprim17ROCPRIM_400000_NS6detail17trampoline_kernelINS0_14default_configENS1_27scan_by_key_config_selectorImiEEZZNS1_16scan_by_key_implILNS1_25lookback_scan_determinismE0ELb0ES3_N6thrust23THRUST_200600_302600_NS18transform_iteratorI9row_indexNS9_17counting_iteratorImNS9_11use_defaultESD_SD_EESD_SD_EENS9_6detail15normal_iteratorINS9_10device_ptrIiEEEESK_iNS9_4plusIvEENS9_8equal_toIvEEiEE10hipError_tPvRmT2_T3_T4_T5_mT6_T7_P12ihipStream_tbENKUlT_T0_E_clISt17integral_constantIbLb0EES15_EEDaS10_S11_EUlS10_E_NS1_11comp_targetILNS1_3genE0ELNS1_11target_archE4294967295ELNS1_3gpuE0ELNS1_3repE0EEENS1_30default_config_static_selectorELNS0_4arch9wavefront6targetE1EEEvT1_
    .private_segment_fixed_size: 0
    .sgpr_count:     4
    .sgpr_spill_count: 0
    .symbol:         _ZN7rocprim17ROCPRIM_400000_NS6detail17trampoline_kernelINS0_14default_configENS1_27scan_by_key_config_selectorImiEEZZNS1_16scan_by_key_implILNS1_25lookback_scan_determinismE0ELb0ES3_N6thrust23THRUST_200600_302600_NS18transform_iteratorI9row_indexNS9_17counting_iteratorImNS9_11use_defaultESD_SD_EESD_SD_EENS9_6detail15normal_iteratorINS9_10device_ptrIiEEEESK_iNS9_4plusIvEENS9_8equal_toIvEEiEE10hipError_tPvRmT2_T3_T4_T5_mT6_T7_P12ihipStream_tbENKUlT_T0_E_clISt17integral_constantIbLb0EES15_EEDaS10_S11_EUlS10_E_NS1_11comp_targetILNS1_3genE0ELNS1_11target_archE4294967295ELNS1_3gpuE0ELNS1_3repE0EEENS1_30default_config_static_selectorELNS0_4arch9wavefront6targetE1EEEvT1_.kd
    .uniform_work_group_size: 1
    .uses_dynamic_stack: false
    .vgpr_count:     0
    .vgpr_spill_count: 0
    .wavefront_size: 64
  - .args:
      - .offset:         0
        .size:           120
        .value_kind:     by_value
    .group_segment_fixed_size: 0
    .kernarg_segment_align: 8
    .kernarg_segment_size: 120
    .language:       OpenCL C
    .language_version:
      - 2
      - 0
    .max_flat_workgroup_size: 256
    .name:           _ZN7rocprim17ROCPRIM_400000_NS6detail17trampoline_kernelINS0_14default_configENS1_27scan_by_key_config_selectorImiEEZZNS1_16scan_by_key_implILNS1_25lookback_scan_determinismE0ELb0ES3_N6thrust23THRUST_200600_302600_NS18transform_iteratorI9row_indexNS9_17counting_iteratorImNS9_11use_defaultESD_SD_EESD_SD_EENS9_6detail15normal_iteratorINS9_10device_ptrIiEEEESK_iNS9_4plusIvEENS9_8equal_toIvEEiEE10hipError_tPvRmT2_T3_T4_T5_mT6_T7_P12ihipStream_tbENKUlT_T0_E_clISt17integral_constantIbLb0EES15_EEDaS10_S11_EUlS10_E_NS1_11comp_targetILNS1_3genE10ELNS1_11target_archE1201ELNS1_3gpuE5ELNS1_3repE0EEENS1_30default_config_static_selectorELNS0_4arch9wavefront6targetE1EEEvT1_
    .private_segment_fixed_size: 0
    .sgpr_count:     4
    .sgpr_spill_count: 0
    .symbol:         _ZN7rocprim17ROCPRIM_400000_NS6detail17trampoline_kernelINS0_14default_configENS1_27scan_by_key_config_selectorImiEEZZNS1_16scan_by_key_implILNS1_25lookback_scan_determinismE0ELb0ES3_N6thrust23THRUST_200600_302600_NS18transform_iteratorI9row_indexNS9_17counting_iteratorImNS9_11use_defaultESD_SD_EESD_SD_EENS9_6detail15normal_iteratorINS9_10device_ptrIiEEEESK_iNS9_4plusIvEENS9_8equal_toIvEEiEE10hipError_tPvRmT2_T3_T4_T5_mT6_T7_P12ihipStream_tbENKUlT_T0_E_clISt17integral_constantIbLb0EES15_EEDaS10_S11_EUlS10_E_NS1_11comp_targetILNS1_3genE10ELNS1_11target_archE1201ELNS1_3gpuE5ELNS1_3repE0EEENS1_30default_config_static_selectorELNS0_4arch9wavefront6targetE1EEEvT1_.kd
    .uniform_work_group_size: 1
    .uses_dynamic_stack: false
    .vgpr_count:     0
    .vgpr_spill_count: 0
    .wavefront_size: 64
  - .args:
      - .offset:         0
        .size:           120
        .value_kind:     by_value
    .group_segment_fixed_size: 0
    .kernarg_segment_align: 8
    .kernarg_segment_size: 120
    .language:       OpenCL C
    .language_version:
      - 2
      - 0
    .max_flat_workgroup_size: 256
    .name:           _ZN7rocprim17ROCPRIM_400000_NS6detail17trampoline_kernelINS0_14default_configENS1_27scan_by_key_config_selectorImiEEZZNS1_16scan_by_key_implILNS1_25lookback_scan_determinismE0ELb0ES3_N6thrust23THRUST_200600_302600_NS18transform_iteratorI9row_indexNS9_17counting_iteratorImNS9_11use_defaultESD_SD_EESD_SD_EENS9_6detail15normal_iteratorINS9_10device_ptrIiEEEESK_iNS9_4plusIvEENS9_8equal_toIvEEiEE10hipError_tPvRmT2_T3_T4_T5_mT6_T7_P12ihipStream_tbENKUlT_T0_E_clISt17integral_constantIbLb0EES15_EEDaS10_S11_EUlS10_E_NS1_11comp_targetILNS1_3genE5ELNS1_11target_archE942ELNS1_3gpuE9ELNS1_3repE0EEENS1_30default_config_static_selectorELNS0_4arch9wavefront6targetE1EEEvT1_
    .private_segment_fixed_size: 0
    .sgpr_count:     4
    .sgpr_spill_count: 0
    .symbol:         _ZN7rocprim17ROCPRIM_400000_NS6detail17trampoline_kernelINS0_14default_configENS1_27scan_by_key_config_selectorImiEEZZNS1_16scan_by_key_implILNS1_25lookback_scan_determinismE0ELb0ES3_N6thrust23THRUST_200600_302600_NS18transform_iteratorI9row_indexNS9_17counting_iteratorImNS9_11use_defaultESD_SD_EESD_SD_EENS9_6detail15normal_iteratorINS9_10device_ptrIiEEEESK_iNS9_4plusIvEENS9_8equal_toIvEEiEE10hipError_tPvRmT2_T3_T4_T5_mT6_T7_P12ihipStream_tbENKUlT_T0_E_clISt17integral_constantIbLb0EES15_EEDaS10_S11_EUlS10_E_NS1_11comp_targetILNS1_3genE5ELNS1_11target_archE942ELNS1_3gpuE9ELNS1_3repE0EEENS1_30default_config_static_selectorELNS0_4arch9wavefront6targetE1EEEvT1_.kd
    .uniform_work_group_size: 1
    .uses_dynamic_stack: false
    .vgpr_count:     0
    .vgpr_spill_count: 0
    .wavefront_size: 64
  - .args:
      - .offset:         0
        .size:           120
        .value_kind:     by_value
    .group_segment_fixed_size: 0
    .kernarg_segment_align: 8
    .kernarg_segment_size: 120
    .language:       OpenCL C
    .language_version:
      - 2
      - 0
    .max_flat_workgroup_size: 256
    .name:           _ZN7rocprim17ROCPRIM_400000_NS6detail17trampoline_kernelINS0_14default_configENS1_27scan_by_key_config_selectorImiEEZZNS1_16scan_by_key_implILNS1_25lookback_scan_determinismE0ELb0ES3_N6thrust23THRUST_200600_302600_NS18transform_iteratorI9row_indexNS9_17counting_iteratorImNS9_11use_defaultESD_SD_EESD_SD_EENS9_6detail15normal_iteratorINS9_10device_ptrIiEEEESK_iNS9_4plusIvEENS9_8equal_toIvEEiEE10hipError_tPvRmT2_T3_T4_T5_mT6_T7_P12ihipStream_tbENKUlT_T0_E_clISt17integral_constantIbLb0EES15_EEDaS10_S11_EUlS10_E_NS1_11comp_targetILNS1_3genE4ELNS1_11target_archE910ELNS1_3gpuE8ELNS1_3repE0EEENS1_30default_config_static_selectorELNS0_4arch9wavefront6targetE1EEEvT1_
    .private_segment_fixed_size: 0
    .sgpr_count:     4
    .sgpr_spill_count: 0
    .symbol:         _ZN7rocprim17ROCPRIM_400000_NS6detail17trampoline_kernelINS0_14default_configENS1_27scan_by_key_config_selectorImiEEZZNS1_16scan_by_key_implILNS1_25lookback_scan_determinismE0ELb0ES3_N6thrust23THRUST_200600_302600_NS18transform_iteratorI9row_indexNS9_17counting_iteratorImNS9_11use_defaultESD_SD_EESD_SD_EENS9_6detail15normal_iteratorINS9_10device_ptrIiEEEESK_iNS9_4plusIvEENS9_8equal_toIvEEiEE10hipError_tPvRmT2_T3_T4_T5_mT6_T7_P12ihipStream_tbENKUlT_T0_E_clISt17integral_constantIbLb0EES15_EEDaS10_S11_EUlS10_E_NS1_11comp_targetILNS1_3genE4ELNS1_11target_archE910ELNS1_3gpuE8ELNS1_3repE0EEENS1_30default_config_static_selectorELNS0_4arch9wavefront6targetE1EEEvT1_.kd
    .uniform_work_group_size: 1
    .uses_dynamic_stack: false
    .vgpr_count:     0
    .vgpr_spill_count: 0
    .wavefront_size: 64
  - .args:
      - .offset:         0
        .size:           120
        .value_kind:     by_value
    .group_segment_fixed_size: 0
    .kernarg_segment_align: 8
    .kernarg_segment_size: 120
    .language:       OpenCL C
    .language_version:
      - 2
      - 0
    .max_flat_workgroup_size: 256
    .name:           _ZN7rocprim17ROCPRIM_400000_NS6detail17trampoline_kernelINS0_14default_configENS1_27scan_by_key_config_selectorImiEEZZNS1_16scan_by_key_implILNS1_25lookback_scan_determinismE0ELb0ES3_N6thrust23THRUST_200600_302600_NS18transform_iteratorI9row_indexNS9_17counting_iteratorImNS9_11use_defaultESD_SD_EESD_SD_EENS9_6detail15normal_iteratorINS9_10device_ptrIiEEEESK_iNS9_4plusIvEENS9_8equal_toIvEEiEE10hipError_tPvRmT2_T3_T4_T5_mT6_T7_P12ihipStream_tbENKUlT_T0_E_clISt17integral_constantIbLb0EES15_EEDaS10_S11_EUlS10_E_NS1_11comp_targetILNS1_3genE3ELNS1_11target_archE908ELNS1_3gpuE7ELNS1_3repE0EEENS1_30default_config_static_selectorELNS0_4arch9wavefront6targetE1EEEvT1_
    .private_segment_fixed_size: 0
    .sgpr_count:     4
    .sgpr_spill_count: 0
    .symbol:         _ZN7rocprim17ROCPRIM_400000_NS6detail17trampoline_kernelINS0_14default_configENS1_27scan_by_key_config_selectorImiEEZZNS1_16scan_by_key_implILNS1_25lookback_scan_determinismE0ELb0ES3_N6thrust23THRUST_200600_302600_NS18transform_iteratorI9row_indexNS9_17counting_iteratorImNS9_11use_defaultESD_SD_EESD_SD_EENS9_6detail15normal_iteratorINS9_10device_ptrIiEEEESK_iNS9_4plusIvEENS9_8equal_toIvEEiEE10hipError_tPvRmT2_T3_T4_T5_mT6_T7_P12ihipStream_tbENKUlT_T0_E_clISt17integral_constantIbLb0EES15_EEDaS10_S11_EUlS10_E_NS1_11comp_targetILNS1_3genE3ELNS1_11target_archE908ELNS1_3gpuE7ELNS1_3repE0EEENS1_30default_config_static_selectorELNS0_4arch9wavefront6targetE1EEEvT1_.kd
    .uniform_work_group_size: 1
    .uses_dynamic_stack: false
    .vgpr_count:     0
    .vgpr_spill_count: 0
    .wavefront_size: 64
  - .args:
      - .offset:         0
        .size:           120
        .value_kind:     by_value
    .group_segment_fixed_size: 32768
    .kernarg_segment_align: 8
    .kernarg_segment_size: 120
    .language:       OpenCL C
    .language_version:
      - 2
      - 0
    .max_flat_workgroup_size: 256
    .name:           _ZN7rocprim17ROCPRIM_400000_NS6detail17trampoline_kernelINS0_14default_configENS1_27scan_by_key_config_selectorImiEEZZNS1_16scan_by_key_implILNS1_25lookback_scan_determinismE0ELb0ES3_N6thrust23THRUST_200600_302600_NS18transform_iteratorI9row_indexNS9_17counting_iteratorImNS9_11use_defaultESD_SD_EESD_SD_EENS9_6detail15normal_iteratorINS9_10device_ptrIiEEEESK_iNS9_4plusIvEENS9_8equal_toIvEEiEE10hipError_tPvRmT2_T3_T4_T5_mT6_T7_P12ihipStream_tbENKUlT_T0_E_clISt17integral_constantIbLb0EES15_EEDaS10_S11_EUlS10_E_NS1_11comp_targetILNS1_3genE2ELNS1_11target_archE906ELNS1_3gpuE6ELNS1_3repE0EEENS1_30default_config_static_selectorELNS0_4arch9wavefront6targetE1EEEvT1_
    .private_segment_fixed_size: 0
    .sgpr_count:     79
    .sgpr_spill_count: 0
    .symbol:         _ZN7rocprim17ROCPRIM_400000_NS6detail17trampoline_kernelINS0_14default_configENS1_27scan_by_key_config_selectorImiEEZZNS1_16scan_by_key_implILNS1_25lookback_scan_determinismE0ELb0ES3_N6thrust23THRUST_200600_302600_NS18transform_iteratorI9row_indexNS9_17counting_iteratorImNS9_11use_defaultESD_SD_EESD_SD_EENS9_6detail15normal_iteratorINS9_10device_ptrIiEEEESK_iNS9_4plusIvEENS9_8equal_toIvEEiEE10hipError_tPvRmT2_T3_T4_T5_mT6_T7_P12ihipStream_tbENKUlT_T0_E_clISt17integral_constantIbLb0EES15_EEDaS10_S11_EUlS10_E_NS1_11comp_targetILNS1_3genE2ELNS1_11target_archE906ELNS1_3gpuE6ELNS1_3repE0EEENS1_30default_config_static_selectorELNS0_4arch9wavefront6targetE1EEEvT1_.kd
    .uniform_work_group_size: 1
    .uses_dynamic_stack: false
    .vgpr_count:     82
    .vgpr_spill_count: 0
    .wavefront_size: 64
  - .args:
      - .offset:         0
        .size:           120
        .value_kind:     by_value
    .group_segment_fixed_size: 0
    .kernarg_segment_align: 8
    .kernarg_segment_size: 120
    .language:       OpenCL C
    .language_version:
      - 2
      - 0
    .max_flat_workgroup_size: 256
    .name:           _ZN7rocprim17ROCPRIM_400000_NS6detail17trampoline_kernelINS0_14default_configENS1_27scan_by_key_config_selectorImiEEZZNS1_16scan_by_key_implILNS1_25lookback_scan_determinismE0ELb0ES3_N6thrust23THRUST_200600_302600_NS18transform_iteratorI9row_indexNS9_17counting_iteratorImNS9_11use_defaultESD_SD_EESD_SD_EENS9_6detail15normal_iteratorINS9_10device_ptrIiEEEESK_iNS9_4plusIvEENS9_8equal_toIvEEiEE10hipError_tPvRmT2_T3_T4_T5_mT6_T7_P12ihipStream_tbENKUlT_T0_E_clISt17integral_constantIbLb0EES15_EEDaS10_S11_EUlS10_E_NS1_11comp_targetILNS1_3genE10ELNS1_11target_archE1200ELNS1_3gpuE4ELNS1_3repE0EEENS1_30default_config_static_selectorELNS0_4arch9wavefront6targetE1EEEvT1_
    .private_segment_fixed_size: 0
    .sgpr_count:     4
    .sgpr_spill_count: 0
    .symbol:         _ZN7rocprim17ROCPRIM_400000_NS6detail17trampoline_kernelINS0_14default_configENS1_27scan_by_key_config_selectorImiEEZZNS1_16scan_by_key_implILNS1_25lookback_scan_determinismE0ELb0ES3_N6thrust23THRUST_200600_302600_NS18transform_iteratorI9row_indexNS9_17counting_iteratorImNS9_11use_defaultESD_SD_EESD_SD_EENS9_6detail15normal_iteratorINS9_10device_ptrIiEEEESK_iNS9_4plusIvEENS9_8equal_toIvEEiEE10hipError_tPvRmT2_T3_T4_T5_mT6_T7_P12ihipStream_tbENKUlT_T0_E_clISt17integral_constantIbLb0EES15_EEDaS10_S11_EUlS10_E_NS1_11comp_targetILNS1_3genE10ELNS1_11target_archE1200ELNS1_3gpuE4ELNS1_3repE0EEENS1_30default_config_static_selectorELNS0_4arch9wavefront6targetE1EEEvT1_.kd
    .uniform_work_group_size: 1
    .uses_dynamic_stack: false
    .vgpr_count:     0
    .vgpr_spill_count: 0
    .wavefront_size: 64
  - .args:
      - .offset:         0
        .size:           120
        .value_kind:     by_value
    .group_segment_fixed_size: 0
    .kernarg_segment_align: 8
    .kernarg_segment_size: 120
    .language:       OpenCL C
    .language_version:
      - 2
      - 0
    .max_flat_workgroup_size: 256
    .name:           _ZN7rocprim17ROCPRIM_400000_NS6detail17trampoline_kernelINS0_14default_configENS1_27scan_by_key_config_selectorImiEEZZNS1_16scan_by_key_implILNS1_25lookback_scan_determinismE0ELb0ES3_N6thrust23THRUST_200600_302600_NS18transform_iteratorI9row_indexNS9_17counting_iteratorImNS9_11use_defaultESD_SD_EESD_SD_EENS9_6detail15normal_iteratorINS9_10device_ptrIiEEEESK_iNS9_4plusIvEENS9_8equal_toIvEEiEE10hipError_tPvRmT2_T3_T4_T5_mT6_T7_P12ihipStream_tbENKUlT_T0_E_clISt17integral_constantIbLb0EES15_EEDaS10_S11_EUlS10_E_NS1_11comp_targetILNS1_3genE9ELNS1_11target_archE1100ELNS1_3gpuE3ELNS1_3repE0EEENS1_30default_config_static_selectorELNS0_4arch9wavefront6targetE1EEEvT1_
    .private_segment_fixed_size: 0
    .sgpr_count:     4
    .sgpr_spill_count: 0
    .symbol:         _ZN7rocprim17ROCPRIM_400000_NS6detail17trampoline_kernelINS0_14default_configENS1_27scan_by_key_config_selectorImiEEZZNS1_16scan_by_key_implILNS1_25lookback_scan_determinismE0ELb0ES3_N6thrust23THRUST_200600_302600_NS18transform_iteratorI9row_indexNS9_17counting_iteratorImNS9_11use_defaultESD_SD_EESD_SD_EENS9_6detail15normal_iteratorINS9_10device_ptrIiEEEESK_iNS9_4plusIvEENS9_8equal_toIvEEiEE10hipError_tPvRmT2_T3_T4_T5_mT6_T7_P12ihipStream_tbENKUlT_T0_E_clISt17integral_constantIbLb0EES15_EEDaS10_S11_EUlS10_E_NS1_11comp_targetILNS1_3genE9ELNS1_11target_archE1100ELNS1_3gpuE3ELNS1_3repE0EEENS1_30default_config_static_selectorELNS0_4arch9wavefront6targetE1EEEvT1_.kd
    .uniform_work_group_size: 1
    .uses_dynamic_stack: false
    .vgpr_count:     0
    .vgpr_spill_count: 0
    .wavefront_size: 64
  - .args:
      - .offset:         0
        .size:           120
        .value_kind:     by_value
    .group_segment_fixed_size: 0
    .kernarg_segment_align: 8
    .kernarg_segment_size: 120
    .language:       OpenCL C
    .language_version:
      - 2
      - 0
    .max_flat_workgroup_size: 256
    .name:           _ZN7rocprim17ROCPRIM_400000_NS6detail17trampoline_kernelINS0_14default_configENS1_27scan_by_key_config_selectorImiEEZZNS1_16scan_by_key_implILNS1_25lookback_scan_determinismE0ELb0ES3_N6thrust23THRUST_200600_302600_NS18transform_iteratorI9row_indexNS9_17counting_iteratorImNS9_11use_defaultESD_SD_EESD_SD_EENS9_6detail15normal_iteratorINS9_10device_ptrIiEEEESK_iNS9_4plusIvEENS9_8equal_toIvEEiEE10hipError_tPvRmT2_T3_T4_T5_mT6_T7_P12ihipStream_tbENKUlT_T0_E_clISt17integral_constantIbLb0EES15_EEDaS10_S11_EUlS10_E_NS1_11comp_targetILNS1_3genE8ELNS1_11target_archE1030ELNS1_3gpuE2ELNS1_3repE0EEENS1_30default_config_static_selectorELNS0_4arch9wavefront6targetE1EEEvT1_
    .private_segment_fixed_size: 0
    .sgpr_count:     4
    .sgpr_spill_count: 0
    .symbol:         _ZN7rocprim17ROCPRIM_400000_NS6detail17trampoline_kernelINS0_14default_configENS1_27scan_by_key_config_selectorImiEEZZNS1_16scan_by_key_implILNS1_25lookback_scan_determinismE0ELb0ES3_N6thrust23THRUST_200600_302600_NS18transform_iteratorI9row_indexNS9_17counting_iteratorImNS9_11use_defaultESD_SD_EESD_SD_EENS9_6detail15normal_iteratorINS9_10device_ptrIiEEEESK_iNS9_4plusIvEENS9_8equal_toIvEEiEE10hipError_tPvRmT2_T3_T4_T5_mT6_T7_P12ihipStream_tbENKUlT_T0_E_clISt17integral_constantIbLb0EES15_EEDaS10_S11_EUlS10_E_NS1_11comp_targetILNS1_3genE8ELNS1_11target_archE1030ELNS1_3gpuE2ELNS1_3repE0EEENS1_30default_config_static_selectorELNS0_4arch9wavefront6targetE1EEEvT1_.kd
    .uniform_work_group_size: 1
    .uses_dynamic_stack: false
    .vgpr_count:     0
    .vgpr_spill_count: 0
    .wavefront_size: 64
  - .args:
      - .address_space:  global
        .offset:         0
        .size:           8
        .value_kind:     global_buffer
      - .offset:         8
        .size:           4
        .value_kind:     by_value
      - .offset:         12
        .size:           4
        .value_kind:     by_value
      - .address_space:  global
        .offset:         16
        .size:           8
        .value_kind:     global_buffer
      - .offset:         24
        .size:           16
        .value_kind:     by_value
      - .actual_access:  write_only
        .address_space:  global
        .offset:         40
        .size:           8
        .value_kind:     global_buffer
      - .offset:         48
        .size:           8
        .value_kind:     by_value
      - .offset:         56
        .size:           4
        .value_kind:     by_value
      - .address_space:  global
        .offset:         64
        .size:           8
        .value_kind:     global_buffer
      - .offset:         72
        .size:           4
        .value_kind:     hidden_block_count_x
      - .offset:         76
        .size:           4
        .value_kind:     hidden_block_count_y
      - .offset:         80
        .size:           4
        .value_kind:     hidden_block_count_z
      - .offset:         84
        .size:           2
        .value_kind:     hidden_group_size_x
      - .offset:         86
        .size:           2
        .value_kind:     hidden_group_size_y
      - .offset:         88
        .size:           2
        .value_kind:     hidden_group_size_z
      - .offset:         90
        .size:           2
        .value_kind:     hidden_remainder_x
      - .offset:         92
        .size:           2
        .value_kind:     hidden_remainder_y
      - .offset:         94
        .size:           2
        .value_kind:     hidden_remainder_z
      - .offset:         112
        .size:           8
        .value_kind:     hidden_global_offset_x
      - .offset:         120
        .size:           8
        .value_kind:     hidden_global_offset_y
      - .offset:         128
        .size:           8
        .value_kind:     hidden_global_offset_z
      - .offset:         136
        .size:           2
        .value_kind:     hidden_grid_dims
    .group_segment_fixed_size: 0
    .kernarg_segment_align: 8
    .kernarg_segment_size: 328
    .language:       OpenCL C
    .language_version:
      - 2
      - 0
    .max_flat_workgroup_size: 256
    .name:           _ZN7rocprim17ROCPRIM_400000_NS6detail30init_device_scan_by_key_kernelINS1_19lookback_scan_stateINS0_5tupleIJibEEELb1ELb1EEEN6thrust23THRUST_200600_302600_NS18transform_iteratorI9row_indexNS8_17counting_iteratorImNS8_11use_defaultESC_SC_EESC_SC_EEjNS1_16block_id_wrapperIjLb1EEEEEvT_jjPNSH_10value_typeET0_PNSt15iterator_traitsISK_E10value_typeEmT1_T2_
    .private_segment_fixed_size: 0
    .sgpr_count:     27
    .sgpr_spill_count: 0
    .symbol:         _ZN7rocprim17ROCPRIM_400000_NS6detail30init_device_scan_by_key_kernelINS1_19lookback_scan_stateINS0_5tupleIJibEEELb1ELb1EEEN6thrust23THRUST_200600_302600_NS18transform_iteratorI9row_indexNS8_17counting_iteratorImNS8_11use_defaultESC_SC_EESC_SC_EEjNS1_16block_id_wrapperIjLb1EEEEEvT_jjPNSH_10value_typeET0_PNSt15iterator_traitsISK_E10value_typeEmT1_T2_.kd
    .uniform_work_group_size: 1
    .uses_dynamic_stack: false
    .vgpr_count:     18
    .vgpr_spill_count: 0
    .wavefront_size: 64
  - .args:
      - .address_space:  global
        .offset:         0
        .size:           8
        .value_kind:     global_buffer
      - .offset:         8
        .size:           4
        .value_kind:     by_value
      - .offset:         12
        .size:           4
        .value_kind:     by_value
      - .address_space:  global
        .offset:         16
        .size:           8
        .value_kind:     global_buffer
      - .address_space:  global
        .offset:         24
        .size:           8
        .value_kind:     global_buffer
      - .offset:         32
        .size:           4
        .value_kind:     hidden_block_count_x
      - .offset:         36
        .size:           4
        .value_kind:     hidden_block_count_y
      - .offset:         40
        .size:           4
        .value_kind:     hidden_block_count_z
      - .offset:         44
        .size:           2
        .value_kind:     hidden_group_size_x
      - .offset:         46
        .size:           2
        .value_kind:     hidden_group_size_y
      - .offset:         48
        .size:           2
        .value_kind:     hidden_group_size_z
      - .offset:         50
        .size:           2
        .value_kind:     hidden_remainder_x
      - .offset:         52
        .size:           2
        .value_kind:     hidden_remainder_y
      - .offset:         54
        .size:           2
        .value_kind:     hidden_remainder_z
      - .offset:         72
        .size:           8
        .value_kind:     hidden_global_offset_x
      - .offset:         80
        .size:           8
        .value_kind:     hidden_global_offset_y
      - .offset:         88
        .size:           8
        .value_kind:     hidden_global_offset_z
      - .offset:         96
        .size:           2
        .value_kind:     hidden_grid_dims
    .group_segment_fixed_size: 0
    .kernarg_segment_align: 8
    .kernarg_segment_size: 288
    .language:       OpenCL C
    .language_version:
      - 2
      - 0
    .max_flat_workgroup_size: 256
    .name:           _ZN7rocprim17ROCPRIM_400000_NS6detail30init_device_scan_by_key_kernelINS1_19lookback_scan_stateINS0_5tupleIJibEEELb1ELb1EEENS1_16block_id_wrapperIjLb1EEEEEvT_jjPNS9_10value_typeET0_
    .private_segment_fixed_size: 0
    .sgpr_count:     20
    .sgpr_spill_count: 0
    .symbol:         _ZN7rocprim17ROCPRIM_400000_NS6detail30init_device_scan_by_key_kernelINS1_19lookback_scan_stateINS0_5tupleIJibEEELb1ELb1EEENS1_16block_id_wrapperIjLb1EEEEEvT_jjPNS9_10value_typeET0_.kd
    .uniform_work_group_size: 1
    .uses_dynamic_stack: false
    .vgpr_count:     8
    .vgpr_spill_count: 0
    .wavefront_size: 64
  - .args:
      - .offset:         0
        .size:           120
        .value_kind:     by_value
    .group_segment_fixed_size: 0
    .kernarg_segment_align: 8
    .kernarg_segment_size: 120
    .language:       OpenCL C
    .language_version:
      - 2
      - 0
    .max_flat_workgroup_size: 256
    .name:           _ZN7rocprim17ROCPRIM_400000_NS6detail17trampoline_kernelINS0_14default_configENS1_27scan_by_key_config_selectorImiEEZZNS1_16scan_by_key_implILNS1_25lookback_scan_determinismE0ELb0ES3_N6thrust23THRUST_200600_302600_NS18transform_iteratorI9row_indexNS9_17counting_iteratorImNS9_11use_defaultESD_SD_EESD_SD_EENS9_6detail15normal_iteratorINS9_10device_ptrIiEEEESK_iNS9_4plusIvEENS9_8equal_toIvEEiEE10hipError_tPvRmT2_T3_T4_T5_mT6_T7_P12ihipStream_tbENKUlT_T0_E_clISt17integral_constantIbLb1EES15_EEDaS10_S11_EUlS10_E_NS1_11comp_targetILNS1_3genE0ELNS1_11target_archE4294967295ELNS1_3gpuE0ELNS1_3repE0EEENS1_30default_config_static_selectorELNS0_4arch9wavefront6targetE1EEEvT1_
    .private_segment_fixed_size: 0
    .sgpr_count:     4
    .sgpr_spill_count: 0
    .symbol:         _ZN7rocprim17ROCPRIM_400000_NS6detail17trampoline_kernelINS0_14default_configENS1_27scan_by_key_config_selectorImiEEZZNS1_16scan_by_key_implILNS1_25lookback_scan_determinismE0ELb0ES3_N6thrust23THRUST_200600_302600_NS18transform_iteratorI9row_indexNS9_17counting_iteratorImNS9_11use_defaultESD_SD_EESD_SD_EENS9_6detail15normal_iteratorINS9_10device_ptrIiEEEESK_iNS9_4plusIvEENS9_8equal_toIvEEiEE10hipError_tPvRmT2_T3_T4_T5_mT6_T7_P12ihipStream_tbENKUlT_T0_E_clISt17integral_constantIbLb1EES15_EEDaS10_S11_EUlS10_E_NS1_11comp_targetILNS1_3genE0ELNS1_11target_archE4294967295ELNS1_3gpuE0ELNS1_3repE0EEENS1_30default_config_static_selectorELNS0_4arch9wavefront6targetE1EEEvT1_.kd
    .uniform_work_group_size: 1
    .uses_dynamic_stack: false
    .vgpr_count:     0
    .vgpr_spill_count: 0
    .wavefront_size: 64
  - .args:
      - .offset:         0
        .size:           120
        .value_kind:     by_value
    .group_segment_fixed_size: 0
    .kernarg_segment_align: 8
    .kernarg_segment_size: 120
    .language:       OpenCL C
    .language_version:
      - 2
      - 0
    .max_flat_workgroup_size: 256
    .name:           _ZN7rocprim17ROCPRIM_400000_NS6detail17trampoline_kernelINS0_14default_configENS1_27scan_by_key_config_selectorImiEEZZNS1_16scan_by_key_implILNS1_25lookback_scan_determinismE0ELb0ES3_N6thrust23THRUST_200600_302600_NS18transform_iteratorI9row_indexNS9_17counting_iteratorImNS9_11use_defaultESD_SD_EESD_SD_EENS9_6detail15normal_iteratorINS9_10device_ptrIiEEEESK_iNS9_4plusIvEENS9_8equal_toIvEEiEE10hipError_tPvRmT2_T3_T4_T5_mT6_T7_P12ihipStream_tbENKUlT_T0_E_clISt17integral_constantIbLb1EES15_EEDaS10_S11_EUlS10_E_NS1_11comp_targetILNS1_3genE10ELNS1_11target_archE1201ELNS1_3gpuE5ELNS1_3repE0EEENS1_30default_config_static_selectorELNS0_4arch9wavefront6targetE1EEEvT1_
    .private_segment_fixed_size: 0
    .sgpr_count:     4
    .sgpr_spill_count: 0
    .symbol:         _ZN7rocprim17ROCPRIM_400000_NS6detail17trampoline_kernelINS0_14default_configENS1_27scan_by_key_config_selectorImiEEZZNS1_16scan_by_key_implILNS1_25lookback_scan_determinismE0ELb0ES3_N6thrust23THRUST_200600_302600_NS18transform_iteratorI9row_indexNS9_17counting_iteratorImNS9_11use_defaultESD_SD_EESD_SD_EENS9_6detail15normal_iteratorINS9_10device_ptrIiEEEESK_iNS9_4plusIvEENS9_8equal_toIvEEiEE10hipError_tPvRmT2_T3_T4_T5_mT6_T7_P12ihipStream_tbENKUlT_T0_E_clISt17integral_constantIbLb1EES15_EEDaS10_S11_EUlS10_E_NS1_11comp_targetILNS1_3genE10ELNS1_11target_archE1201ELNS1_3gpuE5ELNS1_3repE0EEENS1_30default_config_static_selectorELNS0_4arch9wavefront6targetE1EEEvT1_.kd
    .uniform_work_group_size: 1
    .uses_dynamic_stack: false
    .vgpr_count:     0
    .vgpr_spill_count: 0
    .wavefront_size: 64
  - .args:
      - .offset:         0
        .size:           120
        .value_kind:     by_value
    .group_segment_fixed_size: 0
    .kernarg_segment_align: 8
    .kernarg_segment_size: 120
    .language:       OpenCL C
    .language_version:
      - 2
      - 0
    .max_flat_workgroup_size: 256
    .name:           _ZN7rocprim17ROCPRIM_400000_NS6detail17trampoline_kernelINS0_14default_configENS1_27scan_by_key_config_selectorImiEEZZNS1_16scan_by_key_implILNS1_25lookback_scan_determinismE0ELb0ES3_N6thrust23THRUST_200600_302600_NS18transform_iteratorI9row_indexNS9_17counting_iteratorImNS9_11use_defaultESD_SD_EESD_SD_EENS9_6detail15normal_iteratorINS9_10device_ptrIiEEEESK_iNS9_4plusIvEENS9_8equal_toIvEEiEE10hipError_tPvRmT2_T3_T4_T5_mT6_T7_P12ihipStream_tbENKUlT_T0_E_clISt17integral_constantIbLb1EES15_EEDaS10_S11_EUlS10_E_NS1_11comp_targetILNS1_3genE5ELNS1_11target_archE942ELNS1_3gpuE9ELNS1_3repE0EEENS1_30default_config_static_selectorELNS0_4arch9wavefront6targetE1EEEvT1_
    .private_segment_fixed_size: 0
    .sgpr_count:     4
    .sgpr_spill_count: 0
    .symbol:         _ZN7rocprim17ROCPRIM_400000_NS6detail17trampoline_kernelINS0_14default_configENS1_27scan_by_key_config_selectorImiEEZZNS1_16scan_by_key_implILNS1_25lookback_scan_determinismE0ELb0ES3_N6thrust23THRUST_200600_302600_NS18transform_iteratorI9row_indexNS9_17counting_iteratorImNS9_11use_defaultESD_SD_EESD_SD_EENS9_6detail15normal_iteratorINS9_10device_ptrIiEEEESK_iNS9_4plusIvEENS9_8equal_toIvEEiEE10hipError_tPvRmT2_T3_T4_T5_mT6_T7_P12ihipStream_tbENKUlT_T0_E_clISt17integral_constantIbLb1EES15_EEDaS10_S11_EUlS10_E_NS1_11comp_targetILNS1_3genE5ELNS1_11target_archE942ELNS1_3gpuE9ELNS1_3repE0EEENS1_30default_config_static_selectorELNS0_4arch9wavefront6targetE1EEEvT1_.kd
    .uniform_work_group_size: 1
    .uses_dynamic_stack: false
    .vgpr_count:     0
    .vgpr_spill_count: 0
    .wavefront_size: 64
  - .args:
      - .offset:         0
        .size:           120
        .value_kind:     by_value
    .group_segment_fixed_size: 0
    .kernarg_segment_align: 8
    .kernarg_segment_size: 120
    .language:       OpenCL C
    .language_version:
      - 2
      - 0
    .max_flat_workgroup_size: 256
    .name:           _ZN7rocprim17ROCPRIM_400000_NS6detail17trampoline_kernelINS0_14default_configENS1_27scan_by_key_config_selectorImiEEZZNS1_16scan_by_key_implILNS1_25lookback_scan_determinismE0ELb0ES3_N6thrust23THRUST_200600_302600_NS18transform_iteratorI9row_indexNS9_17counting_iteratorImNS9_11use_defaultESD_SD_EESD_SD_EENS9_6detail15normal_iteratorINS9_10device_ptrIiEEEESK_iNS9_4plusIvEENS9_8equal_toIvEEiEE10hipError_tPvRmT2_T3_T4_T5_mT6_T7_P12ihipStream_tbENKUlT_T0_E_clISt17integral_constantIbLb1EES15_EEDaS10_S11_EUlS10_E_NS1_11comp_targetILNS1_3genE4ELNS1_11target_archE910ELNS1_3gpuE8ELNS1_3repE0EEENS1_30default_config_static_selectorELNS0_4arch9wavefront6targetE1EEEvT1_
    .private_segment_fixed_size: 0
    .sgpr_count:     4
    .sgpr_spill_count: 0
    .symbol:         _ZN7rocprim17ROCPRIM_400000_NS6detail17trampoline_kernelINS0_14default_configENS1_27scan_by_key_config_selectorImiEEZZNS1_16scan_by_key_implILNS1_25lookback_scan_determinismE0ELb0ES3_N6thrust23THRUST_200600_302600_NS18transform_iteratorI9row_indexNS9_17counting_iteratorImNS9_11use_defaultESD_SD_EESD_SD_EENS9_6detail15normal_iteratorINS9_10device_ptrIiEEEESK_iNS9_4plusIvEENS9_8equal_toIvEEiEE10hipError_tPvRmT2_T3_T4_T5_mT6_T7_P12ihipStream_tbENKUlT_T0_E_clISt17integral_constantIbLb1EES15_EEDaS10_S11_EUlS10_E_NS1_11comp_targetILNS1_3genE4ELNS1_11target_archE910ELNS1_3gpuE8ELNS1_3repE0EEENS1_30default_config_static_selectorELNS0_4arch9wavefront6targetE1EEEvT1_.kd
    .uniform_work_group_size: 1
    .uses_dynamic_stack: false
    .vgpr_count:     0
    .vgpr_spill_count: 0
    .wavefront_size: 64
  - .args:
      - .offset:         0
        .size:           120
        .value_kind:     by_value
    .group_segment_fixed_size: 0
    .kernarg_segment_align: 8
    .kernarg_segment_size: 120
    .language:       OpenCL C
    .language_version:
      - 2
      - 0
    .max_flat_workgroup_size: 256
    .name:           _ZN7rocprim17ROCPRIM_400000_NS6detail17trampoline_kernelINS0_14default_configENS1_27scan_by_key_config_selectorImiEEZZNS1_16scan_by_key_implILNS1_25lookback_scan_determinismE0ELb0ES3_N6thrust23THRUST_200600_302600_NS18transform_iteratorI9row_indexNS9_17counting_iteratorImNS9_11use_defaultESD_SD_EESD_SD_EENS9_6detail15normal_iteratorINS9_10device_ptrIiEEEESK_iNS9_4plusIvEENS9_8equal_toIvEEiEE10hipError_tPvRmT2_T3_T4_T5_mT6_T7_P12ihipStream_tbENKUlT_T0_E_clISt17integral_constantIbLb1EES15_EEDaS10_S11_EUlS10_E_NS1_11comp_targetILNS1_3genE3ELNS1_11target_archE908ELNS1_3gpuE7ELNS1_3repE0EEENS1_30default_config_static_selectorELNS0_4arch9wavefront6targetE1EEEvT1_
    .private_segment_fixed_size: 0
    .sgpr_count:     4
    .sgpr_spill_count: 0
    .symbol:         _ZN7rocprim17ROCPRIM_400000_NS6detail17trampoline_kernelINS0_14default_configENS1_27scan_by_key_config_selectorImiEEZZNS1_16scan_by_key_implILNS1_25lookback_scan_determinismE0ELb0ES3_N6thrust23THRUST_200600_302600_NS18transform_iteratorI9row_indexNS9_17counting_iteratorImNS9_11use_defaultESD_SD_EESD_SD_EENS9_6detail15normal_iteratorINS9_10device_ptrIiEEEESK_iNS9_4plusIvEENS9_8equal_toIvEEiEE10hipError_tPvRmT2_T3_T4_T5_mT6_T7_P12ihipStream_tbENKUlT_T0_E_clISt17integral_constantIbLb1EES15_EEDaS10_S11_EUlS10_E_NS1_11comp_targetILNS1_3genE3ELNS1_11target_archE908ELNS1_3gpuE7ELNS1_3repE0EEENS1_30default_config_static_selectorELNS0_4arch9wavefront6targetE1EEEvT1_.kd
    .uniform_work_group_size: 1
    .uses_dynamic_stack: false
    .vgpr_count:     0
    .vgpr_spill_count: 0
    .wavefront_size: 64
  - .args:
      - .offset:         0
        .size:           120
        .value_kind:     by_value
    .group_segment_fixed_size: 0
    .kernarg_segment_align: 8
    .kernarg_segment_size: 120
    .language:       OpenCL C
    .language_version:
      - 2
      - 0
    .max_flat_workgroup_size: 256
    .name:           _ZN7rocprim17ROCPRIM_400000_NS6detail17trampoline_kernelINS0_14default_configENS1_27scan_by_key_config_selectorImiEEZZNS1_16scan_by_key_implILNS1_25lookback_scan_determinismE0ELb0ES3_N6thrust23THRUST_200600_302600_NS18transform_iteratorI9row_indexNS9_17counting_iteratorImNS9_11use_defaultESD_SD_EESD_SD_EENS9_6detail15normal_iteratorINS9_10device_ptrIiEEEESK_iNS9_4plusIvEENS9_8equal_toIvEEiEE10hipError_tPvRmT2_T3_T4_T5_mT6_T7_P12ihipStream_tbENKUlT_T0_E_clISt17integral_constantIbLb1EES15_EEDaS10_S11_EUlS10_E_NS1_11comp_targetILNS1_3genE2ELNS1_11target_archE906ELNS1_3gpuE6ELNS1_3repE0EEENS1_30default_config_static_selectorELNS0_4arch9wavefront6targetE1EEEvT1_
    .private_segment_fixed_size: 0
    .sgpr_count:     4
    .sgpr_spill_count: 0
    .symbol:         _ZN7rocprim17ROCPRIM_400000_NS6detail17trampoline_kernelINS0_14default_configENS1_27scan_by_key_config_selectorImiEEZZNS1_16scan_by_key_implILNS1_25lookback_scan_determinismE0ELb0ES3_N6thrust23THRUST_200600_302600_NS18transform_iteratorI9row_indexNS9_17counting_iteratorImNS9_11use_defaultESD_SD_EESD_SD_EENS9_6detail15normal_iteratorINS9_10device_ptrIiEEEESK_iNS9_4plusIvEENS9_8equal_toIvEEiEE10hipError_tPvRmT2_T3_T4_T5_mT6_T7_P12ihipStream_tbENKUlT_T0_E_clISt17integral_constantIbLb1EES15_EEDaS10_S11_EUlS10_E_NS1_11comp_targetILNS1_3genE2ELNS1_11target_archE906ELNS1_3gpuE6ELNS1_3repE0EEENS1_30default_config_static_selectorELNS0_4arch9wavefront6targetE1EEEvT1_.kd
    .uniform_work_group_size: 1
    .uses_dynamic_stack: false
    .vgpr_count:     0
    .vgpr_spill_count: 0
    .wavefront_size: 64
  - .args:
      - .offset:         0
        .size:           120
        .value_kind:     by_value
    .group_segment_fixed_size: 0
    .kernarg_segment_align: 8
    .kernarg_segment_size: 120
    .language:       OpenCL C
    .language_version:
      - 2
      - 0
    .max_flat_workgroup_size: 256
    .name:           _ZN7rocprim17ROCPRIM_400000_NS6detail17trampoline_kernelINS0_14default_configENS1_27scan_by_key_config_selectorImiEEZZNS1_16scan_by_key_implILNS1_25lookback_scan_determinismE0ELb0ES3_N6thrust23THRUST_200600_302600_NS18transform_iteratorI9row_indexNS9_17counting_iteratorImNS9_11use_defaultESD_SD_EESD_SD_EENS9_6detail15normal_iteratorINS9_10device_ptrIiEEEESK_iNS9_4plusIvEENS9_8equal_toIvEEiEE10hipError_tPvRmT2_T3_T4_T5_mT6_T7_P12ihipStream_tbENKUlT_T0_E_clISt17integral_constantIbLb1EES15_EEDaS10_S11_EUlS10_E_NS1_11comp_targetILNS1_3genE10ELNS1_11target_archE1200ELNS1_3gpuE4ELNS1_3repE0EEENS1_30default_config_static_selectorELNS0_4arch9wavefront6targetE1EEEvT1_
    .private_segment_fixed_size: 0
    .sgpr_count:     4
    .sgpr_spill_count: 0
    .symbol:         _ZN7rocprim17ROCPRIM_400000_NS6detail17trampoline_kernelINS0_14default_configENS1_27scan_by_key_config_selectorImiEEZZNS1_16scan_by_key_implILNS1_25lookback_scan_determinismE0ELb0ES3_N6thrust23THRUST_200600_302600_NS18transform_iteratorI9row_indexNS9_17counting_iteratorImNS9_11use_defaultESD_SD_EESD_SD_EENS9_6detail15normal_iteratorINS9_10device_ptrIiEEEESK_iNS9_4plusIvEENS9_8equal_toIvEEiEE10hipError_tPvRmT2_T3_T4_T5_mT6_T7_P12ihipStream_tbENKUlT_T0_E_clISt17integral_constantIbLb1EES15_EEDaS10_S11_EUlS10_E_NS1_11comp_targetILNS1_3genE10ELNS1_11target_archE1200ELNS1_3gpuE4ELNS1_3repE0EEENS1_30default_config_static_selectorELNS0_4arch9wavefront6targetE1EEEvT1_.kd
    .uniform_work_group_size: 1
    .uses_dynamic_stack: false
    .vgpr_count:     0
    .vgpr_spill_count: 0
    .wavefront_size: 64
  - .args:
      - .offset:         0
        .size:           120
        .value_kind:     by_value
    .group_segment_fixed_size: 0
    .kernarg_segment_align: 8
    .kernarg_segment_size: 120
    .language:       OpenCL C
    .language_version:
      - 2
      - 0
    .max_flat_workgroup_size: 256
    .name:           _ZN7rocprim17ROCPRIM_400000_NS6detail17trampoline_kernelINS0_14default_configENS1_27scan_by_key_config_selectorImiEEZZNS1_16scan_by_key_implILNS1_25lookback_scan_determinismE0ELb0ES3_N6thrust23THRUST_200600_302600_NS18transform_iteratorI9row_indexNS9_17counting_iteratorImNS9_11use_defaultESD_SD_EESD_SD_EENS9_6detail15normal_iteratorINS9_10device_ptrIiEEEESK_iNS9_4plusIvEENS9_8equal_toIvEEiEE10hipError_tPvRmT2_T3_T4_T5_mT6_T7_P12ihipStream_tbENKUlT_T0_E_clISt17integral_constantIbLb1EES15_EEDaS10_S11_EUlS10_E_NS1_11comp_targetILNS1_3genE9ELNS1_11target_archE1100ELNS1_3gpuE3ELNS1_3repE0EEENS1_30default_config_static_selectorELNS0_4arch9wavefront6targetE1EEEvT1_
    .private_segment_fixed_size: 0
    .sgpr_count:     4
    .sgpr_spill_count: 0
    .symbol:         _ZN7rocprim17ROCPRIM_400000_NS6detail17trampoline_kernelINS0_14default_configENS1_27scan_by_key_config_selectorImiEEZZNS1_16scan_by_key_implILNS1_25lookback_scan_determinismE0ELb0ES3_N6thrust23THRUST_200600_302600_NS18transform_iteratorI9row_indexNS9_17counting_iteratorImNS9_11use_defaultESD_SD_EESD_SD_EENS9_6detail15normal_iteratorINS9_10device_ptrIiEEEESK_iNS9_4plusIvEENS9_8equal_toIvEEiEE10hipError_tPvRmT2_T3_T4_T5_mT6_T7_P12ihipStream_tbENKUlT_T0_E_clISt17integral_constantIbLb1EES15_EEDaS10_S11_EUlS10_E_NS1_11comp_targetILNS1_3genE9ELNS1_11target_archE1100ELNS1_3gpuE3ELNS1_3repE0EEENS1_30default_config_static_selectorELNS0_4arch9wavefront6targetE1EEEvT1_.kd
    .uniform_work_group_size: 1
    .uses_dynamic_stack: false
    .vgpr_count:     0
    .vgpr_spill_count: 0
    .wavefront_size: 64
  - .args:
      - .offset:         0
        .size:           120
        .value_kind:     by_value
    .group_segment_fixed_size: 0
    .kernarg_segment_align: 8
    .kernarg_segment_size: 120
    .language:       OpenCL C
    .language_version:
      - 2
      - 0
    .max_flat_workgroup_size: 256
    .name:           _ZN7rocprim17ROCPRIM_400000_NS6detail17trampoline_kernelINS0_14default_configENS1_27scan_by_key_config_selectorImiEEZZNS1_16scan_by_key_implILNS1_25lookback_scan_determinismE0ELb0ES3_N6thrust23THRUST_200600_302600_NS18transform_iteratorI9row_indexNS9_17counting_iteratorImNS9_11use_defaultESD_SD_EESD_SD_EENS9_6detail15normal_iteratorINS9_10device_ptrIiEEEESK_iNS9_4plusIvEENS9_8equal_toIvEEiEE10hipError_tPvRmT2_T3_T4_T5_mT6_T7_P12ihipStream_tbENKUlT_T0_E_clISt17integral_constantIbLb1EES15_EEDaS10_S11_EUlS10_E_NS1_11comp_targetILNS1_3genE8ELNS1_11target_archE1030ELNS1_3gpuE2ELNS1_3repE0EEENS1_30default_config_static_selectorELNS0_4arch9wavefront6targetE1EEEvT1_
    .private_segment_fixed_size: 0
    .sgpr_count:     4
    .sgpr_spill_count: 0
    .symbol:         _ZN7rocprim17ROCPRIM_400000_NS6detail17trampoline_kernelINS0_14default_configENS1_27scan_by_key_config_selectorImiEEZZNS1_16scan_by_key_implILNS1_25lookback_scan_determinismE0ELb0ES3_N6thrust23THRUST_200600_302600_NS18transform_iteratorI9row_indexNS9_17counting_iteratorImNS9_11use_defaultESD_SD_EESD_SD_EENS9_6detail15normal_iteratorINS9_10device_ptrIiEEEESK_iNS9_4plusIvEENS9_8equal_toIvEEiEE10hipError_tPvRmT2_T3_T4_T5_mT6_T7_P12ihipStream_tbENKUlT_T0_E_clISt17integral_constantIbLb1EES15_EEDaS10_S11_EUlS10_E_NS1_11comp_targetILNS1_3genE8ELNS1_11target_archE1030ELNS1_3gpuE2ELNS1_3repE0EEENS1_30default_config_static_selectorELNS0_4arch9wavefront6targetE1EEEvT1_.kd
    .uniform_work_group_size: 1
    .uses_dynamic_stack: false
    .vgpr_count:     0
    .vgpr_spill_count: 0
    .wavefront_size: 64
  - .args:
      - .address_space:  global
        .offset:         0
        .size:           8
        .value_kind:     global_buffer
      - .offset:         8
        .size:           4
        .value_kind:     by_value
      - .offset:         12
        .size:           4
        .value_kind:     by_value
      - .address_space:  global
        .offset:         16
        .size:           8
        .value_kind:     global_buffer
      - .offset:         24
        .size:           16
        .value_kind:     by_value
      - .actual_access:  write_only
        .address_space:  global
        .offset:         40
        .size:           8
        .value_kind:     global_buffer
      - .offset:         48
        .size:           8
        .value_kind:     by_value
      - .offset:         56
        .size:           4
        .value_kind:     by_value
      - .offset:         60
        .size:           1
        .value_kind:     by_value
      - .offset:         64
        .size:           4
        .value_kind:     hidden_block_count_x
      - .offset:         68
        .size:           4
        .value_kind:     hidden_block_count_y
      - .offset:         72
        .size:           4
        .value_kind:     hidden_block_count_z
      - .offset:         76
        .size:           2
        .value_kind:     hidden_group_size_x
      - .offset:         78
        .size:           2
        .value_kind:     hidden_group_size_y
      - .offset:         80
        .size:           2
        .value_kind:     hidden_group_size_z
      - .offset:         82
        .size:           2
        .value_kind:     hidden_remainder_x
      - .offset:         84
        .size:           2
        .value_kind:     hidden_remainder_y
      - .offset:         86
        .size:           2
        .value_kind:     hidden_remainder_z
      - .offset:         104
        .size:           8
        .value_kind:     hidden_global_offset_x
      - .offset:         112
        .size:           8
        .value_kind:     hidden_global_offset_y
      - .offset:         120
        .size:           8
        .value_kind:     hidden_global_offset_z
      - .offset:         128
        .size:           2
        .value_kind:     hidden_grid_dims
    .group_segment_fixed_size: 0
    .kernarg_segment_align: 8
    .kernarg_segment_size: 320
    .language:       OpenCL C
    .language_version:
      - 2
      - 0
    .max_flat_workgroup_size: 256
    .name:           _ZN7rocprim17ROCPRIM_400000_NS6detail30init_device_scan_by_key_kernelINS1_19lookback_scan_stateINS0_5tupleIJibEEELb1ELb1EEEN6thrust23THRUST_200600_302600_NS18transform_iteratorI9row_indexNS8_17counting_iteratorImNS8_11use_defaultESC_SC_EESC_SC_EEjNS1_16block_id_wrapperIjLb0EEEEEvT_jjPNSH_10value_typeET0_PNSt15iterator_traitsISK_E10value_typeEmT1_T2_
    .private_segment_fixed_size: 0
    .sgpr_count:     27
    .sgpr_spill_count: 0
    .symbol:         _ZN7rocprim17ROCPRIM_400000_NS6detail30init_device_scan_by_key_kernelINS1_19lookback_scan_stateINS0_5tupleIJibEEELb1ELb1EEEN6thrust23THRUST_200600_302600_NS18transform_iteratorI9row_indexNS8_17counting_iteratorImNS8_11use_defaultESC_SC_EESC_SC_EEjNS1_16block_id_wrapperIjLb0EEEEEvT_jjPNSH_10value_typeET0_PNSt15iterator_traitsISK_E10value_typeEmT1_T2_.kd
    .uniform_work_group_size: 1
    .uses_dynamic_stack: false
    .vgpr_count:     18
    .vgpr_spill_count: 0
    .wavefront_size: 64
  - .args:
      - .address_space:  global
        .offset:         0
        .size:           8
        .value_kind:     global_buffer
      - .offset:         8
        .size:           4
        .value_kind:     by_value
      - .offset:         12
        .size:           4
        .value_kind:     by_value
      - .address_space:  global
        .offset:         16
        .size:           8
        .value_kind:     global_buffer
      - .offset:         24
        .size:           1
        .value_kind:     by_value
      - .offset:         32
        .size:           4
        .value_kind:     hidden_block_count_x
      - .offset:         36
        .size:           4
        .value_kind:     hidden_block_count_y
      - .offset:         40
        .size:           4
        .value_kind:     hidden_block_count_z
      - .offset:         44
        .size:           2
        .value_kind:     hidden_group_size_x
      - .offset:         46
        .size:           2
        .value_kind:     hidden_group_size_y
      - .offset:         48
        .size:           2
        .value_kind:     hidden_group_size_z
      - .offset:         50
        .size:           2
        .value_kind:     hidden_remainder_x
      - .offset:         52
        .size:           2
        .value_kind:     hidden_remainder_y
      - .offset:         54
        .size:           2
        .value_kind:     hidden_remainder_z
      - .offset:         72
        .size:           8
        .value_kind:     hidden_global_offset_x
      - .offset:         80
        .size:           8
        .value_kind:     hidden_global_offset_y
      - .offset:         88
        .size:           8
        .value_kind:     hidden_global_offset_z
      - .offset:         96
        .size:           2
        .value_kind:     hidden_grid_dims
    .group_segment_fixed_size: 0
    .kernarg_segment_align: 8
    .kernarg_segment_size: 288
    .language:       OpenCL C
    .language_version:
      - 2
      - 0
    .max_flat_workgroup_size: 256
    .name:           _ZN7rocprim17ROCPRIM_400000_NS6detail30init_device_scan_by_key_kernelINS1_19lookback_scan_stateINS0_5tupleIJibEEELb1ELb1EEENS1_16block_id_wrapperIjLb0EEEEEvT_jjPNS9_10value_typeET0_
    .private_segment_fixed_size: 0
    .sgpr_count:     18
    .sgpr_spill_count: 0
    .symbol:         _ZN7rocprim17ROCPRIM_400000_NS6detail30init_device_scan_by_key_kernelINS1_19lookback_scan_stateINS0_5tupleIJibEEELb1ELb1EEENS1_16block_id_wrapperIjLb0EEEEEvT_jjPNS9_10value_typeET0_.kd
    .uniform_work_group_size: 1
    .uses_dynamic_stack: false
    .vgpr_count:     8
    .vgpr_spill_count: 0
    .wavefront_size: 64
  - .args:
      - .offset:         0
        .size:           120
        .value_kind:     by_value
    .group_segment_fixed_size: 0
    .kernarg_segment_align: 8
    .kernarg_segment_size: 120
    .language:       OpenCL C
    .language_version:
      - 2
      - 0
    .max_flat_workgroup_size: 256
    .name:           _ZN7rocprim17ROCPRIM_400000_NS6detail17trampoline_kernelINS0_14default_configENS1_27scan_by_key_config_selectorImiEEZZNS1_16scan_by_key_implILNS1_25lookback_scan_determinismE0ELb0ES3_N6thrust23THRUST_200600_302600_NS18transform_iteratorI9row_indexNS9_17counting_iteratorImNS9_11use_defaultESD_SD_EESD_SD_EENS9_6detail15normal_iteratorINS9_10device_ptrIiEEEESK_iNS9_4plusIvEENS9_8equal_toIvEEiEE10hipError_tPvRmT2_T3_T4_T5_mT6_T7_P12ihipStream_tbENKUlT_T0_E_clISt17integral_constantIbLb1EES14_IbLb0EEEEDaS10_S11_EUlS10_E_NS1_11comp_targetILNS1_3genE0ELNS1_11target_archE4294967295ELNS1_3gpuE0ELNS1_3repE0EEENS1_30default_config_static_selectorELNS0_4arch9wavefront6targetE1EEEvT1_
    .private_segment_fixed_size: 0
    .sgpr_count:     4
    .sgpr_spill_count: 0
    .symbol:         _ZN7rocprim17ROCPRIM_400000_NS6detail17trampoline_kernelINS0_14default_configENS1_27scan_by_key_config_selectorImiEEZZNS1_16scan_by_key_implILNS1_25lookback_scan_determinismE0ELb0ES3_N6thrust23THRUST_200600_302600_NS18transform_iteratorI9row_indexNS9_17counting_iteratorImNS9_11use_defaultESD_SD_EESD_SD_EENS9_6detail15normal_iteratorINS9_10device_ptrIiEEEESK_iNS9_4plusIvEENS9_8equal_toIvEEiEE10hipError_tPvRmT2_T3_T4_T5_mT6_T7_P12ihipStream_tbENKUlT_T0_E_clISt17integral_constantIbLb1EES14_IbLb0EEEEDaS10_S11_EUlS10_E_NS1_11comp_targetILNS1_3genE0ELNS1_11target_archE4294967295ELNS1_3gpuE0ELNS1_3repE0EEENS1_30default_config_static_selectorELNS0_4arch9wavefront6targetE1EEEvT1_.kd
    .uniform_work_group_size: 1
    .uses_dynamic_stack: false
    .vgpr_count:     0
    .vgpr_spill_count: 0
    .wavefront_size: 64
  - .args:
      - .offset:         0
        .size:           120
        .value_kind:     by_value
    .group_segment_fixed_size: 0
    .kernarg_segment_align: 8
    .kernarg_segment_size: 120
    .language:       OpenCL C
    .language_version:
      - 2
      - 0
    .max_flat_workgroup_size: 256
    .name:           _ZN7rocprim17ROCPRIM_400000_NS6detail17trampoline_kernelINS0_14default_configENS1_27scan_by_key_config_selectorImiEEZZNS1_16scan_by_key_implILNS1_25lookback_scan_determinismE0ELb0ES3_N6thrust23THRUST_200600_302600_NS18transform_iteratorI9row_indexNS9_17counting_iteratorImNS9_11use_defaultESD_SD_EESD_SD_EENS9_6detail15normal_iteratorINS9_10device_ptrIiEEEESK_iNS9_4plusIvEENS9_8equal_toIvEEiEE10hipError_tPvRmT2_T3_T4_T5_mT6_T7_P12ihipStream_tbENKUlT_T0_E_clISt17integral_constantIbLb1EES14_IbLb0EEEEDaS10_S11_EUlS10_E_NS1_11comp_targetILNS1_3genE10ELNS1_11target_archE1201ELNS1_3gpuE5ELNS1_3repE0EEENS1_30default_config_static_selectorELNS0_4arch9wavefront6targetE1EEEvT1_
    .private_segment_fixed_size: 0
    .sgpr_count:     4
    .sgpr_spill_count: 0
    .symbol:         _ZN7rocprim17ROCPRIM_400000_NS6detail17trampoline_kernelINS0_14default_configENS1_27scan_by_key_config_selectorImiEEZZNS1_16scan_by_key_implILNS1_25lookback_scan_determinismE0ELb0ES3_N6thrust23THRUST_200600_302600_NS18transform_iteratorI9row_indexNS9_17counting_iteratorImNS9_11use_defaultESD_SD_EESD_SD_EENS9_6detail15normal_iteratorINS9_10device_ptrIiEEEESK_iNS9_4plusIvEENS9_8equal_toIvEEiEE10hipError_tPvRmT2_T3_T4_T5_mT6_T7_P12ihipStream_tbENKUlT_T0_E_clISt17integral_constantIbLb1EES14_IbLb0EEEEDaS10_S11_EUlS10_E_NS1_11comp_targetILNS1_3genE10ELNS1_11target_archE1201ELNS1_3gpuE5ELNS1_3repE0EEENS1_30default_config_static_selectorELNS0_4arch9wavefront6targetE1EEEvT1_.kd
    .uniform_work_group_size: 1
    .uses_dynamic_stack: false
    .vgpr_count:     0
    .vgpr_spill_count: 0
    .wavefront_size: 64
  - .args:
      - .offset:         0
        .size:           120
        .value_kind:     by_value
    .group_segment_fixed_size: 0
    .kernarg_segment_align: 8
    .kernarg_segment_size: 120
    .language:       OpenCL C
    .language_version:
      - 2
      - 0
    .max_flat_workgroup_size: 256
    .name:           _ZN7rocprim17ROCPRIM_400000_NS6detail17trampoline_kernelINS0_14default_configENS1_27scan_by_key_config_selectorImiEEZZNS1_16scan_by_key_implILNS1_25lookback_scan_determinismE0ELb0ES3_N6thrust23THRUST_200600_302600_NS18transform_iteratorI9row_indexNS9_17counting_iteratorImNS9_11use_defaultESD_SD_EESD_SD_EENS9_6detail15normal_iteratorINS9_10device_ptrIiEEEESK_iNS9_4plusIvEENS9_8equal_toIvEEiEE10hipError_tPvRmT2_T3_T4_T5_mT6_T7_P12ihipStream_tbENKUlT_T0_E_clISt17integral_constantIbLb1EES14_IbLb0EEEEDaS10_S11_EUlS10_E_NS1_11comp_targetILNS1_3genE5ELNS1_11target_archE942ELNS1_3gpuE9ELNS1_3repE0EEENS1_30default_config_static_selectorELNS0_4arch9wavefront6targetE1EEEvT1_
    .private_segment_fixed_size: 0
    .sgpr_count:     4
    .sgpr_spill_count: 0
    .symbol:         _ZN7rocprim17ROCPRIM_400000_NS6detail17trampoline_kernelINS0_14default_configENS1_27scan_by_key_config_selectorImiEEZZNS1_16scan_by_key_implILNS1_25lookback_scan_determinismE0ELb0ES3_N6thrust23THRUST_200600_302600_NS18transform_iteratorI9row_indexNS9_17counting_iteratorImNS9_11use_defaultESD_SD_EESD_SD_EENS9_6detail15normal_iteratorINS9_10device_ptrIiEEEESK_iNS9_4plusIvEENS9_8equal_toIvEEiEE10hipError_tPvRmT2_T3_T4_T5_mT6_T7_P12ihipStream_tbENKUlT_T0_E_clISt17integral_constantIbLb1EES14_IbLb0EEEEDaS10_S11_EUlS10_E_NS1_11comp_targetILNS1_3genE5ELNS1_11target_archE942ELNS1_3gpuE9ELNS1_3repE0EEENS1_30default_config_static_selectorELNS0_4arch9wavefront6targetE1EEEvT1_.kd
    .uniform_work_group_size: 1
    .uses_dynamic_stack: false
    .vgpr_count:     0
    .vgpr_spill_count: 0
    .wavefront_size: 64
  - .args:
      - .offset:         0
        .size:           120
        .value_kind:     by_value
    .group_segment_fixed_size: 0
    .kernarg_segment_align: 8
    .kernarg_segment_size: 120
    .language:       OpenCL C
    .language_version:
      - 2
      - 0
    .max_flat_workgroup_size: 256
    .name:           _ZN7rocprim17ROCPRIM_400000_NS6detail17trampoline_kernelINS0_14default_configENS1_27scan_by_key_config_selectorImiEEZZNS1_16scan_by_key_implILNS1_25lookback_scan_determinismE0ELb0ES3_N6thrust23THRUST_200600_302600_NS18transform_iteratorI9row_indexNS9_17counting_iteratorImNS9_11use_defaultESD_SD_EESD_SD_EENS9_6detail15normal_iteratorINS9_10device_ptrIiEEEESK_iNS9_4plusIvEENS9_8equal_toIvEEiEE10hipError_tPvRmT2_T3_T4_T5_mT6_T7_P12ihipStream_tbENKUlT_T0_E_clISt17integral_constantIbLb1EES14_IbLb0EEEEDaS10_S11_EUlS10_E_NS1_11comp_targetILNS1_3genE4ELNS1_11target_archE910ELNS1_3gpuE8ELNS1_3repE0EEENS1_30default_config_static_selectorELNS0_4arch9wavefront6targetE1EEEvT1_
    .private_segment_fixed_size: 0
    .sgpr_count:     4
    .sgpr_spill_count: 0
    .symbol:         _ZN7rocprim17ROCPRIM_400000_NS6detail17trampoline_kernelINS0_14default_configENS1_27scan_by_key_config_selectorImiEEZZNS1_16scan_by_key_implILNS1_25lookback_scan_determinismE0ELb0ES3_N6thrust23THRUST_200600_302600_NS18transform_iteratorI9row_indexNS9_17counting_iteratorImNS9_11use_defaultESD_SD_EESD_SD_EENS9_6detail15normal_iteratorINS9_10device_ptrIiEEEESK_iNS9_4plusIvEENS9_8equal_toIvEEiEE10hipError_tPvRmT2_T3_T4_T5_mT6_T7_P12ihipStream_tbENKUlT_T0_E_clISt17integral_constantIbLb1EES14_IbLb0EEEEDaS10_S11_EUlS10_E_NS1_11comp_targetILNS1_3genE4ELNS1_11target_archE910ELNS1_3gpuE8ELNS1_3repE0EEENS1_30default_config_static_selectorELNS0_4arch9wavefront6targetE1EEEvT1_.kd
    .uniform_work_group_size: 1
    .uses_dynamic_stack: false
    .vgpr_count:     0
    .vgpr_spill_count: 0
    .wavefront_size: 64
  - .args:
      - .offset:         0
        .size:           120
        .value_kind:     by_value
    .group_segment_fixed_size: 0
    .kernarg_segment_align: 8
    .kernarg_segment_size: 120
    .language:       OpenCL C
    .language_version:
      - 2
      - 0
    .max_flat_workgroup_size: 256
    .name:           _ZN7rocprim17ROCPRIM_400000_NS6detail17trampoline_kernelINS0_14default_configENS1_27scan_by_key_config_selectorImiEEZZNS1_16scan_by_key_implILNS1_25lookback_scan_determinismE0ELb0ES3_N6thrust23THRUST_200600_302600_NS18transform_iteratorI9row_indexNS9_17counting_iteratorImNS9_11use_defaultESD_SD_EESD_SD_EENS9_6detail15normal_iteratorINS9_10device_ptrIiEEEESK_iNS9_4plusIvEENS9_8equal_toIvEEiEE10hipError_tPvRmT2_T3_T4_T5_mT6_T7_P12ihipStream_tbENKUlT_T0_E_clISt17integral_constantIbLb1EES14_IbLb0EEEEDaS10_S11_EUlS10_E_NS1_11comp_targetILNS1_3genE3ELNS1_11target_archE908ELNS1_3gpuE7ELNS1_3repE0EEENS1_30default_config_static_selectorELNS0_4arch9wavefront6targetE1EEEvT1_
    .private_segment_fixed_size: 0
    .sgpr_count:     4
    .sgpr_spill_count: 0
    .symbol:         _ZN7rocprim17ROCPRIM_400000_NS6detail17trampoline_kernelINS0_14default_configENS1_27scan_by_key_config_selectorImiEEZZNS1_16scan_by_key_implILNS1_25lookback_scan_determinismE0ELb0ES3_N6thrust23THRUST_200600_302600_NS18transform_iteratorI9row_indexNS9_17counting_iteratorImNS9_11use_defaultESD_SD_EESD_SD_EENS9_6detail15normal_iteratorINS9_10device_ptrIiEEEESK_iNS9_4plusIvEENS9_8equal_toIvEEiEE10hipError_tPvRmT2_T3_T4_T5_mT6_T7_P12ihipStream_tbENKUlT_T0_E_clISt17integral_constantIbLb1EES14_IbLb0EEEEDaS10_S11_EUlS10_E_NS1_11comp_targetILNS1_3genE3ELNS1_11target_archE908ELNS1_3gpuE7ELNS1_3repE0EEENS1_30default_config_static_selectorELNS0_4arch9wavefront6targetE1EEEvT1_.kd
    .uniform_work_group_size: 1
    .uses_dynamic_stack: false
    .vgpr_count:     0
    .vgpr_spill_count: 0
    .wavefront_size: 64
  - .args:
      - .offset:         0
        .size:           120
        .value_kind:     by_value
    .group_segment_fixed_size: 0
    .kernarg_segment_align: 8
    .kernarg_segment_size: 120
    .language:       OpenCL C
    .language_version:
      - 2
      - 0
    .max_flat_workgroup_size: 256
    .name:           _ZN7rocprim17ROCPRIM_400000_NS6detail17trampoline_kernelINS0_14default_configENS1_27scan_by_key_config_selectorImiEEZZNS1_16scan_by_key_implILNS1_25lookback_scan_determinismE0ELb0ES3_N6thrust23THRUST_200600_302600_NS18transform_iteratorI9row_indexNS9_17counting_iteratorImNS9_11use_defaultESD_SD_EESD_SD_EENS9_6detail15normal_iteratorINS9_10device_ptrIiEEEESK_iNS9_4plusIvEENS9_8equal_toIvEEiEE10hipError_tPvRmT2_T3_T4_T5_mT6_T7_P12ihipStream_tbENKUlT_T0_E_clISt17integral_constantIbLb1EES14_IbLb0EEEEDaS10_S11_EUlS10_E_NS1_11comp_targetILNS1_3genE2ELNS1_11target_archE906ELNS1_3gpuE6ELNS1_3repE0EEENS1_30default_config_static_selectorELNS0_4arch9wavefront6targetE1EEEvT1_
    .private_segment_fixed_size: 0
    .sgpr_count:     4
    .sgpr_spill_count: 0
    .symbol:         _ZN7rocprim17ROCPRIM_400000_NS6detail17trampoline_kernelINS0_14default_configENS1_27scan_by_key_config_selectorImiEEZZNS1_16scan_by_key_implILNS1_25lookback_scan_determinismE0ELb0ES3_N6thrust23THRUST_200600_302600_NS18transform_iteratorI9row_indexNS9_17counting_iteratorImNS9_11use_defaultESD_SD_EESD_SD_EENS9_6detail15normal_iteratorINS9_10device_ptrIiEEEESK_iNS9_4plusIvEENS9_8equal_toIvEEiEE10hipError_tPvRmT2_T3_T4_T5_mT6_T7_P12ihipStream_tbENKUlT_T0_E_clISt17integral_constantIbLb1EES14_IbLb0EEEEDaS10_S11_EUlS10_E_NS1_11comp_targetILNS1_3genE2ELNS1_11target_archE906ELNS1_3gpuE6ELNS1_3repE0EEENS1_30default_config_static_selectorELNS0_4arch9wavefront6targetE1EEEvT1_.kd
    .uniform_work_group_size: 1
    .uses_dynamic_stack: false
    .vgpr_count:     0
    .vgpr_spill_count: 0
    .wavefront_size: 64
  - .args:
      - .offset:         0
        .size:           120
        .value_kind:     by_value
    .group_segment_fixed_size: 0
    .kernarg_segment_align: 8
    .kernarg_segment_size: 120
    .language:       OpenCL C
    .language_version:
      - 2
      - 0
    .max_flat_workgroup_size: 256
    .name:           _ZN7rocprim17ROCPRIM_400000_NS6detail17trampoline_kernelINS0_14default_configENS1_27scan_by_key_config_selectorImiEEZZNS1_16scan_by_key_implILNS1_25lookback_scan_determinismE0ELb0ES3_N6thrust23THRUST_200600_302600_NS18transform_iteratorI9row_indexNS9_17counting_iteratorImNS9_11use_defaultESD_SD_EESD_SD_EENS9_6detail15normal_iteratorINS9_10device_ptrIiEEEESK_iNS9_4plusIvEENS9_8equal_toIvEEiEE10hipError_tPvRmT2_T3_T4_T5_mT6_T7_P12ihipStream_tbENKUlT_T0_E_clISt17integral_constantIbLb1EES14_IbLb0EEEEDaS10_S11_EUlS10_E_NS1_11comp_targetILNS1_3genE10ELNS1_11target_archE1200ELNS1_3gpuE4ELNS1_3repE0EEENS1_30default_config_static_selectorELNS0_4arch9wavefront6targetE1EEEvT1_
    .private_segment_fixed_size: 0
    .sgpr_count:     4
    .sgpr_spill_count: 0
    .symbol:         _ZN7rocprim17ROCPRIM_400000_NS6detail17trampoline_kernelINS0_14default_configENS1_27scan_by_key_config_selectorImiEEZZNS1_16scan_by_key_implILNS1_25lookback_scan_determinismE0ELb0ES3_N6thrust23THRUST_200600_302600_NS18transform_iteratorI9row_indexNS9_17counting_iteratorImNS9_11use_defaultESD_SD_EESD_SD_EENS9_6detail15normal_iteratorINS9_10device_ptrIiEEEESK_iNS9_4plusIvEENS9_8equal_toIvEEiEE10hipError_tPvRmT2_T3_T4_T5_mT6_T7_P12ihipStream_tbENKUlT_T0_E_clISt17integral_constantIbLb1EES14_IbLb0EEEEDaS10_S11_EUlS10_E_NS1_11comp_targetILNS1_3genE10ELNS1_11target_archE1200ELNS1_3gpuE4ELNS1_3repE0EEENS1_30default_config_static_selectorELNS0_4arch9wavefront6targetE1EEEvT1_.kd
    .uniform_work_group_size: 1
    .uses_dynamic_stack: false
    .vgpr_count:     0
    .vgpr_spill_count: 0
    .wavefront_size: 64
  - .args:
      - .offset:         0
        .size:           120
        .value_kind:     by_value
    .group_segment_fixed_size: 0
    .kernarg_segment_align: 8
    .kernarg_segment_size: 120
    .language:       OpenCL C
    .language_version:
      - 2
      - 0
    .max_flat_workgroup_size: 256
    .name:           _ZN7rocprim17ROCPRIM_400000_NS6detail17trampoline_kernelINS0_14default_configENS1_27scan_by_key_config_selectorImiEEZZNS1_16scan_by_key_implILNS1_25lookback_scan_determinismE0ELb0ES3_N6thrust23THRUST_200600_302600_NS18transform_iteratorI9row_indexNS9_17counting_iteratorImNS9_11use_defaultESD_SD_EESD_SD_EENS9_6detail15normal_iteratorINS9_10device_ptrIiEEEESK_iNS9_4plusIvEENS9_8equal_toIvEEiEE10hipError_tPvRmT2_T3_T4_T5_mT6_T7_P12ihipStream_tbENKUlT_T0_E_clISt17integral_constantIbLb1EES14_IbLb0EEEEDaS10_S11_EUlS10_E_NS1_11comp_targetILNS1_3genE9ELNS1_11target_archE1100ELNS1_3gpuE3ELNS1_3repE0EEENS1_30default_config_static_selectorELNS0_4arch9wavefront6targetE1EEEvT1_
    .private_segment_fixed_size: 0
    .sgpr_count:     4
    .sgpr_spill_count: 0
    .symbol:         _ZN7rocprim17ROCPRIM_400000_NS6detail17trampoline_kernelINS0_14default_configENS1_27scan_by_key_config_selectorImiEEZZNS1_16scan_by_key_implILNS1_25lookback_scan_determinismE0ELb0ES3_N6thrust23THRUST_200600_302600_NS18transform_iteratorI9row_indexNS9_17counting_iteratorImNS9_11use_defaultESD_SD_EESD_SD_EENS9_6detail15normal_iteratorINS9_10device_ptrIiEEEESK_iNS9_4plusIvEENS9_8equal_toIvEEiEE10hipError_tPvRmT2_T3_T4_T5_mT6_T7_P12ihipStream_tbENKUlT_T0_E_clISt17integral_constantIbLb1EES14_IbLb0EEEEDaS10_S11_EUlS10_E_NS1_11comp_targetILNS1_3genE9ELNS1_11target_archE1100ELNS1_3gpuE3ELNS1_3repE0EEENS1_30default_config_static_selectorELNS0_4arch9wavefront6targetE1EEEvT1_.kd
    .uniform_work_group_size: 1
    .uses_dynamic_stack: false
    .vgpr_count:     0
    .vgpr_spill_count: 0
    .wavefront_size: 64
  - .args:
      - .offset:         0
        .size:           120
        .value_kind:     by_value
    .group_segment_fixed_size: 0
    .kernarg_segment_align: 8
    .kernarg_segment_size: 120
    .language:       OpenCL C
    .language_version:
      - 2
      - 0
    .max_flat_workgroup_size: 256
    .name:           _ZN7rocprim17ROCPRIM_400000_NS6detail17trampoline_kernelINS0_14default_configENS1_27scan_by_key_config_selectorImiEEZZNS1_16scan_by_key_implILNS1_25lookback_scan_determinismE0ELb0ES3_N6thrust23THRUST_200600_302600_NS18transform_iteratorI9row_indexNS9_17counting_iteratorImNS9_11use_defaultESD_SD_EESD_SD_EENS9_6detail15normal_iteratorINS9_10device_ptrIiEEEESK_iNS9_4plusIvEENS9_8equal_toIvEEiEE10hipError_tPvRmT2_T3_T4_T5_mT6_T7_P12ihipStream_tbENKUlT_T0_E_clISt17integral_constantIbLb1EES14_IbLb0EEEEDaS10_S11_EUlS10_E_NS1_11comp_targetILNS1_3genE8ELNS1_11target_archE1030ELNS1_3gpuE2ELNS1_3repE0EEENS1_30default_config_static_selectorELNS0_4arch9wavefront6targetE1EEEvT1_
    .private_segment_fixed_size: 0
    .sgpr_count:     4
    .sgpr_spill_count: 0
    .symbol:         _ZN7rocprim17ROCPRIM_400000_NS6detail17trampoline_kernelINS0_14default_configENS1_27scan_by_key_config_selectorImiEEZZNS1_16scan_by_key_implILNS1_25lookback_scan_determinismE0ELb0ES3_N6thrust23THRUST_200600_302600_NS18transform_iteratorI9row_indexNS9_17counting_iteratorImNS9_11use_defaultESD_SD_EESD_SD_EENS9_6detail15normal_iteratorINS9_10device_ptrIiEEEESK_iNS9_4plusIvEENS9_8equal_toIvEEiEE10hipError_tPvRmT2_T3_T4_T5_mT6_T7_P12ihipStream_tbENKUlT_T0_E_clISt17integral_constantIbLb1EES14_IbLb0EEEEDaS10_S11_EUlS10_E_NS1_11comp_targetILNS1_3genE8ELNS1_11target_archE1030ELNS1_3gpuE2ELNS1_3repE0EEENS1_30default_config_static_selectorELNS0_4arch9wavefront6targetE1EEEvT1_.kd
    .uniform_work_group_size: 1
    .uses_dynamic_stack: false
    .vgpr_count:     0
    .vgpr_spill_count: 0
    .wavefront_size: 64
  - .args:
      - .address_space:  global
        .offset:         0
        .size:           8
        .value_kind:     global_buffer
      - .offset:         8
        .size:           4
        .value_kind:     by_value
      - .offset:         12
        .size:           4
        .value_kind:     by_value
      - .address_space:  global
        .offset:         16
        .size:           8
        .value_kind:     global_buffer
      - .offset:         24
        .size:           16
        .value_kind:     by_value
      - .actual_access:  write_only
        .address_space:  global
        .offset:         40
        .size:           8
        .value_kind:     global_buffer
      - .offset:         48
        .size:           8
        .value_kind:     by_value
      - .offset:         56
        .size:           4
        .value_kind:     by_value
      - .address_space:  global
        .offset:         64
        .size:           8
        .value_kind:     global_buffer
      - .offset:         72
        .size:           4
        .value_kind:     hidden_block_count_x
      - .offset:         76
        .size:           4
        .value_kind:     hidden_block_count_y
      - .offset:         80
        .size:           4
        .value_kind:     hidden_block_count_z
      - .offset:         84
        .size:           2
        .value_kind:     hidden_group_size_x
      - .offset:         86
        .size:           2
        .value_kind:     hidden_group_size_y
      - .offset:         88
        .size:           2
        .value_kind:     hidden_group_size_z
      - .offset:         90
        .size:           2
        .value_kind:     hidden_remainder_x
      - .offset:         92
        .size:           2
        .value_kind:     hidden_remainder_y
      - .offset:         94
        .size:           2
        .value_kind:     hidden_remainder_z
      - .offset:         112
        .size:           8
        .value_kind:     hidden_global_offset_x
      - .offset:         120
        .size:           8
        .value_kind:     hidden_global_offset_y
      - .offset:         128
        .size:           8
        .value_kind:     hidden_global_offset_z
      - .offset:         136
        .size:           2
        .value_kind:     hidden_grid_dims
    .group_segment_fixed_size: 0
    .kernarg_segment_align: 8
    .kernarg_segment_size: 328
    .language:       OpenCL C
    .language_version:
      - 2
      - 0
    .max_flat_workgroup_size: 256
    .name:           _ZN7rocprim17ROCPRIM_400000_NS6detail30init_device_scan_by_key_kernelINS1_19lookback_scan_stateINS0_5tupleIJibEEELb0ELb1EEEN6thrust23THRUST_200600_302600_NS18transform_iteratorI9row_indexNS8_17counting_iteratorImNS8_11use_defaultESC_SC_EESC_SC_EEjNS1_16block_id_wrapperIjLb1EEEEEvT_jjPNSH_10value_typeET0_PNSt15iterator_traitsISK_E10value_typeEmT1_T2_
    .private_segment_fixed_size: 0
    .sgpr_count:     27
    .sgpr_spill_count: 0
    .symbol:         _ZN7rocprim17ROCPRIM_400000_NS6detail30init_device_scan_by_key_kernelINS1_19lookback_scan_stateINS0_5tupleIJibEEELb0ELb1EEEN6thrust23THRUST_200600_302600_NS18transform_iteratorI9row_indexNS8_17counting_iteratorImNS8_11use_defaultESC_SC_EESC_SC_EEjNS1_16block_id_wrapperIjLb1EEEEEvT_jjPNSH_10value_typeET0_PNSt15iterator_traitsISK_E10value_typeEmT1_T2_.kd
    .uniform_work_group_size: 1
    .uses_dynamic_stack: false
    .vgpr_count:     18
    .vgpr_spill_count: 0
    .wavefront_size: 64
  - .args:
      - .address_space:  global
        .offset:         0
        .size:           8
        .value_kind:     global_buffer
      - .offset:         8
        .size:           4
        .value_kind:     by_value
      - .offset:         12
        .size:           4
        .value_kind:     by_value
      - .address_space:  global
        .offset:         16
        .size:           8
        .value_kind:     global_buffer
      - .address_space:  global
        .offset:         24
        .size:           8
        .value_kind:     global_buffer
      - .offset:         32
        .size:           4
        .value_kind:     hidden_block_count_x
      - .offset:         36
        .size:           4
        .value_kind:     hidden_block_count_y
      - .offset:         40
        .size:           4
        .value_kind:     hidden_block_count_z
      - .offset:         44
        .size:           2
        .value_kind:     hidden_group_size_x
      - .offset:         46
        .size:           2
        .value_kind:     hidden_group_size_y
      - .offset:         48
        .size:           2
        .value_kind:     hidden_group_size_z
      - .offset:         50
        .size:           2
        .value_kind:     hidden_remainder_x
      - .offset:         52
        .size:           2
        .value_kind:     hidden_remainder_y
      - .offset:         54
        .size:           2
        .value_kind:     hidden_remainder_z
      - .offset:         72
        .size:           8
        .value_kind:     hidden_global_offset_x
      - .offset:         80
        .size:           8
        .value_kind:     hidden_global_offset_y
      - .offset:         88
        .size:           8
        .value_kind:     hidden_global_offset_z
      - .offset:         96
        .size:           2
        .value_kind:     hidden_grid_dims
    .group_segment_fixed_size: 0
    .kernarg_segment_align: 8
    .kernarg_segment_size: 288
    .language:       OpenCL C
    .language_version:
      - 2
      - 0
    .max_flat_workgroup_size: 256
    .name:           _ZN7rocprim17ROCPRIM_400000_NS6detail30init_device_scan_by_key_kernelINS1_19lookback_scan_stateINS0_5tupleIJibEEELb0ELb1EEENS1_16block_id_wrapperIjLb1EEEEEvT_jjPNS9_10value_typeET0_
    .private_segment_fixed_size: 0
    .sgpr_count:     20
    .sgpr_spill_count: 0
    .symbol:         _ZN7rocprim17ROCPRIM_400000_NS6detail30init_device_scan_by_key_kernelINS1_19lookback_scan_stateINS0_5tupleIJibEEELb0ELb1EEENS1_16block_id_wrapperIjLb1EEEEEvT_jjPNS9_10value_typeET0_.kd
    .uniform_work_group_size: 1
    .uses_dynamic_stack: false
    .vgpr_count:     8
    .vgpr_spill_count: 0
    .wavefront_size: 64
  - .args:
      - .offset:         0
        .size:           120
        .value_kind:     by_value
    .group_segment_fixed_size: 0
    .kernarg_segment_align: 8
    .kernarg_segment_size: 120
    .language:       OpenCL C
    .language_version:
      - 2
      - 0
    .max_flat_workgroup_size: 256
    .name:           _ZN7rocprim17ROCPRIM_400000_NS6detail17trampoline_kernelINS0_14default_configENS1_27scan_by_key_config_selectorImiEEZZNS1_16scan_by_key_implILNS1_25lookback_scan_determinismE0ELb0ES3_N6thrust23THRUST_200600_302600_NS18transform_iteratorI9row_indexNS9_17counting_iteratorImNS9_11use_defaultESD_SD_EESD_SD_EENS9_6detail15normal_iteratorINS9_10device_ptrIiEEEESK_iNS9_4plusIvEENS9_8equal_toIvEEiEE10hipError_tPvRmT2_T3_T4_T5_mT6_T7_P12ihipStream_tbENKUlT_T0_E_clISt17integral_constantIbLb0EES14_IbLb1EEEEDaS10_S11_EUlS10_E_NS1_11comp_targetILNS1_3genE0ELNS1_11target_archE4294967295ELNS1_3gpuE0ELNS1_3repE0EEENS1_30default_config_static_selectorELNS0_4arch9wavefront6targetE1EEEvT1_
    .private_segment_fixed_size: 0
    .sgpr_count:     4
    .sgpr_spill_count: 0
    .symbol:         _ZN7rocprim17ROCPRIM_400000_NS6detail17trampoline_kernelINS0_14default_configENS1_27scan_by_key_config_selectorImiEEZZNS1_16scan_by_key_implILNS1_25lookback_scan_determinismE0ELb0ES3_N6thrust23THRUST_200600_302600_NS18transform_iteratorI9row_indexNS9_17counting_iteratorImNS9_11use_defaultESD_SD_EESD_SD_EENS9_6detail15normal_iteratorINS9_10device_ptrIiEEEESK_iNS9_4plusIvEENS9_8equal_toIvEEiEE10hipError_tPvRmT2_T3_T4_T5_mT6_T7_P12ihipStream_tbENKUlT_T0_E_clISt17integral_constantIbLb0EES14_IbLb1EEEEDaS10_S11_EUlS10_E_NS1_11comp_targetILNS1_3genE0ELNS1_11target_archE4294967295ELNS1_3gpuE0ELNS1_3repE0EEENS1_30default_config_static_selectorELNS0_4arch9wavefront6targetE1EEEvT1_.kd
    .uniform_work_group_size: 1
    .uses_dynamic_stack: false
    .vgpr_count:     0
    .vgpr_spill_count: 0
    .wavefront_size: 64
  - .args:
      - .offset:         0
        .size:           120
        .value_kind:     by_value
    .group_segment_fixed_size: 0
    .kernarg_segment_align: 8
    .kernarg_segment_size: 120
    .language:       OpenCL C
    .language_version:
      - 2
      - 0
    .max_flat_workgroup_size: 256
    .name:           _ZN7rocprim17ROCPRIM_400000_NS6detail17trampoline_kernelINS0_14default_configENS1_27scan_by_key_config_selectorImiEEZZNS1_16scan_by_key_implILNS1_25lookback_scan_determinismE0ELb0ES3_N6thrust23THRUST_200600_302600_NS18transform_iteratorI9row_indexNS9_17counting_iteratorImNS9_11use_defaultESD_SD_EESD_SD_EENS9_6detail15normal_iteratorINS9_10device_ptrIiEEEESK_iNS9_4plusIvEENS9_8equal_toIvEEiEE10hipError_tPvRmT2_T3_T4_T5_mT6_T7_P12ihipStream_tbENKUlT_T0_E_clISt17integral_constantIbLb0EES14_IbLb1EEEEDaS10_S11_EUlS10_E_NS1_11comp_targetILNS1_3genE10ELNS1_11target_archE1201ELNS1_3gpuE5ELNS1_3repE0EEENS1_30default_config_static_selectorELNS0_4arch9wavefront6targetE1EEEvT1_
    .private_segment_fixed_size: 0
    .sgpr_count:     4
    .sgpr_spill_count: 0
    .symbol:         _ZN7rocprim17ROCPRIM_400000_NS6detail17trampoline_kernelINS0_14default_configENS1_27scan_by_key_config_selectorImiEEZZNS1_16scan_by_key_implILNS1_25lookback_scan_determinismE0ELb0ES3_N6thrust23THRUST_200600_302600_NS18transform_iteratorI9row_indexNS9_17counting_iteratorImNS9_11use_defaultESD_SD_EESD_SD_EENS9_6detail15normal_iteratorINS9_10device_ptrIiEEEESK_iNS9_4plusIvEENS9_8equal_toIvEEiEE10hipError_tPvRmT2_T3_T4_T5_mT6_T7_P12ihipStream_tbENKUlT_T0_E_clISt17integral_constantIbLb0EES14_IbLb1EEEEDaS10_S11_EUlS10_E_NS1_11comp_targetILNS1_3genE10ELNS1_11target_archE1201ELNS1_3gpuE5ELNS1_3repE0EEENS1_30default_config_static_selectorELNS0_4arch9wavefront6targetE1EEEvT1_.kd
    .uniform_work_group_size: 1
    .uses_dynamic_stack: false
    .vgpr_count:     0
    .vgpr_spill_count: 0
    .wavefront_size: 64
  - .args:
      - .offset:         0
        .size:           120
        .value_kind:     by_value
    .group_segment_fixed_size: 0
    .kernarg_segment_align: 8
    .kernarg_segment_size: 120
    .language:       OpenCL C
    .language_version:
      - 2
      - 0
    .max_flat_workgroup_size: 256
    .name:           _ZN7rocprim17ROCPRIM_400000_NS6detail17trampoline_kernelINS0_14default_configENS1_27scan_by_key_config_selectorImiEEZZNS1_16scan_by_key_implILNS1_25lookback_scan_determinismE0ELb0ES3_N6thrust23THRUST_200600_302600_NS18transform_iteratorI9row_indexNS9_17counting_iteratorImNS9_11use_defaultESD_SD_EESD_SD_EENS9_6detail15normal_iteratorINS9_10device_ptrIiEEEESK_iNS9_4plusIvEENS9_8equal_toIvEEiEE10hipError_tPvRmT2_T3_T4_T5_mT6_T7_P12ihipStream_tbENKUlT_T0_E_clISt17integral_constantIbLb0EES14_IbLb1EEEEDaS10_S11_EUlS10_E_NS1_11comp_targetILNS1_3genE5ELNS1_11target_archE942ELNS1_3gpuE9ELNS1_3repE0EEENS1_30default_config_static_selectorELNS0_4arch9wavefront6targetE1EEEvT1_
    .private_segment_fixed_size: 0
    .sgpr_count:     4
    .sgpr_spill_count: 0
    .symbol:         _ZN7rocprim17ROCPRIM_400000_NS6detail17trampoline_kernelINS0_14default_configENS1_27scan_by_key_config_selectorImiEEZZNS1_16scan_by_key_implILNS1_25lookback_scan_determinismE0ELb0ES3_N6thrust23THRUST_200600_302600_NS18transform_iteratorI9row_indexNS9_17counting_iteratorImNS9_11use_defaultESD_SD_EESD_SD_EENS9_6detail15normal_iteratorINS9_10device_ptrIiEEEESK_iNS9_4plusIvEENS9_8equal_toIvEEiEE10hipError_tPvRmT2_T3_T4_T5_mT6_T7_P12ihipStream_tbENKUlT_T0_E_clISt17integral_constantIbLb0EES14_IbLb1EEEEDaS10_S11_EUlS10_E_NS1_11comp_targetILNS1_3genE5ELNS1_11target_archE942ELNS1_3gpuE9ELNS1_3repE0EEENS1_30default_config_static_selectorELNS0_4arch9wavefront6targetE1EEEvT1_.kd
    .uniform_work_group_size: 1
    .uses_dynamic_stack: false
    .vgpr_count:     0
    .vgpr_spill_count: 0
    .wavefront_size: 64
  - .args:
      - .offset:         0
        .size:           120
        .value_kind:     by_value
    .group_segment_fixed_size: 0
    .kernarg_segment_align: 8
    .kernarg_segment_size: 120
    .language:       OpenCL C
    .language_version:
      - 2
      - 0
    .max_flat_workgroup_size: 256
    .name:           _ZN7rocprim17ROCPRIM_400000_NS6detail17trampoline_kernelINS0_14default_configENS1_27scan_by_key_config_selectorImiEEZZNS1_16scan_by_key_implILNS1_25lookback_scan_determinismE0ELb0ES3_N6thrust23THRUST_200600_302600_NS18transform_iteratorI9row_indexNS9_17counting_iteratorImNS9_11use_defaultESD_SD_EESD_SD_EENS9_6detail15normal_iteratorINS9_10device_ptrIiEEEESK_iNS9_4plusIvEENS9_8equal_toIvEEiEE10hipError_tPvRmT2_T3_T4_T5_mT6_T7_P12ihipStream_tbENKUlT_T0_E_clISt17integral_constantIbLb0EES14_IbLb1EEEEDaS10_S11_EUlS10_E_NS1_11comp_targetILNS1_3genE4ELNS1_11target_archE910ELNS1_3gpuE8ELNS1_3repE0EEENS1_30default_config_static_selectorELNS0_4arch9wavefront6targetE1EEEvT1_
    .private_segment_fixed_size: 0
    .sgpr_count:     4
    .sgpr_spill_count: 0
    .symbol:         _ZN7rocprim17ROCPRIM_400000_NS6detail17trampoline_kernelINS0_14default_configENS1_27scan_by_key_config_selectorImiEEZZNS1_16scan_by_key_implILNS1_25lookback_scan_determinismE0ELb0ES3_N6thrust23THRUST_200600_302600_NS18transform_iteratorI9row_indexNS9_17counting_iteratorImNS9_11use_defaultESD_SD_EESD_SD_EENS9_6detail15normal_iteratorINS9_10device_ptrIiEEEESK_iNS9_4plusIvEENS9_8equal_toIvEEiEE10hipError_tPvRmT2_T3_T4_T5_mT6_T7_P12ihipStream_tbENKUlT_T0_E_clISt17integral_constantIbLb0EES14_IbLb1EEEEDaS10_S11_EUlS10_E_NS1_11comp_targetILNS1_3genE4ELNS1_11target_archE910ELNS1_3gpuE8ELNS1_3repE0EEENS1_30default_config_static_selectorELNS0_4arch9wavefront6targetE1EEEvT1_.kd
    .uniform_work_group_size: 1
    .uses_dynamic_stack: false
    .vgpr_count:     0
    .vgpr_spill_count: 0
    .wavefront_size: 64
  - .args:
      - .offset:         0
        .size:           120
        .value_kind:     by_value
    .group_segment_fixed_size: 0
    .kernarg_segment_align: 8
    .kernarg_segment_size: 120
    .language:       OpenCL C
    .language_version:
      - 2
      - 0
    .max_flat_workgroup_size: 256
    .name:           _ZN7rocprim17ROCPRIM_400000_NS6detail17trampoline_kernelINS0_14default_configENS1_27scan_by_key_config_selectorImiEEZZNS1_16scan_by_key_implILNS1_25lookback_scan_determinismE0ELb0ES3_N6thrust23THRUST_200600_302600_NS18transform_iteratorI9row_indexNS9_17counting_iteratorImNS9_11use_defaultESD_SD_EESD_SD_EENS9_6detail15normal_iteratorINS9_10device_ptrIiEEEESK_iNS9_4plusIvEENS9_8equal_toIvEEiEE10hipError_tPvRmT2_T3_T4_T5_mT6_T7_P12ihipStream_tbENKUlT_T0_E_clISt17integral_constantIbLb0EES14_IbLb1EEEEDaS10_S11_EUlS10_E_NS1_11comp_targetILNS1_3genE3ELNS1_11target_archE908ELNS1_3gpuE7ELNS1_3repE0EEENS1_30default_config_static_selectorELNS0_4arch9wavefront6targetE1EEEvT1_
    .private_segment_fixed_size: 0
    .sgpr_count:     4
    .sgpr_spill_count: 0
    .symbol:         _ZN7rocprim17ROCPRIM_400000_NS6detail17trampoline_kernelINS0_14default_configENS1_27scan_by_key_config_selectorImiEEZZNS1_16scan_by_key_implILNS1_25lookback_scan_determinismE0ELb0ES3_N6thrust23THRUST_200600_302600_NS18transform_iteratorI9row_indexNS9_17counting_iteratorImNS9_11use_defaultESD_SD_EESD_SD_EENS9_6detail15normal_iteratorINS9_10device_ptrIiEEEESK_iNS9_4plusIvEENS9_8equal_toIvEEiEE10hipError_tPvRmT2_T3_T4_T5_mT6_T7_P12ihipStream_tbENKUlT_T0_E_clISt17integral_constantIbLb0EES14_IbLb1EEEEDaS10_S11_EUlS10_E_NS1_11comp_targetILNS1_3genE3ELNS1_11target_archE908ELNS1_3gpuE7ELNS1_3repE0EEENS1_30default_config_static_selectorELNS0_4arch9wavefront6targetE1EEEvT1_.kd
    .uniform_work_group_size: 1
    .uses_dynamic_stack: false
    .vgpr_count:     0
    .vgpr_spill_count: 0
    .wavefront_size: 64
  - .args:
      - .offset:         0
        .size:           120
        .value_kind:     by_value
    .group_segment_fixed_size: 32768
    .kernarg_segment_align: 8
    .kernarg_segment_size: 120
    .language:       OpenCL C
    .language_version:
      - 2
      - 0
    .max_flat_workgroup_size: 256
    .name:           _ZN7rocprim17ROCPRIM_400000_NS6detail17trampoline_kernelINS0_14default_configENS1_27scan_by_key_config_selectorImiEEZZNS1_16scan_by_key_implILNS1_25lookback_scan_determinismE0ELb0ES3_N6thrust23THRUST_200600_302600_NS18transform_iteratorI9row_indexNS9_17counting_iteratorImNS9_11use_defaultESD_SD_EESD_SD_EENS9_6detail15normal_iteratorINS9_10device_ptrIiEEEESK_iNS9_4plusIvEENS9_8equal_toIvEEiEE10hipError_tPvRmT2_T3_T4_T5_mT6_T7_P12ihipStream_tbENKUlT_T0_E_clISt17integral_constantIbLb0EES14_IbLb1EEEEDaS10_S11_EUlS10_E_NS1_11comp_targetILNS1_3genE2ELNS1_11target_archE906ELNS1_3gpuE6ELNS1_3repE0EEENS1_30default_config_static_selectorELNS0_4arch9wavefront6targetE1EEEvT1_
    .private_segment_fixed_size: 0
    .sgpr_count:     83
    .sgpr_spill_count: 0
    .symbol:         _ZN7rocprim17ROCPRIM_400000_NS6detail17trampoline_kernelINS0_14default_configENS1_27scan_by_key_config_selectorImiEEZZNS1_16scan_by_key_implILNS1_25lookback_scan_determinismE0ELb0ES3_N6thrust23THRUST_200600_302600_NS18transform_iteratorI9row_indexNS9_17counting_iteratorImNS9_11use_defaultESD_SD_EESD_SD_EENS9_6detail15normal_iteratorINS9_10device_ptrIiEEEESK_iNS9_4plusIvEENS9_8equal_toIvEEiEE10hipError_tPvRmT2_T3_T4_T5_mT6_T7_P12ihipStream_tbENKUlT_T0_E_clISt17integral_constantIbLb0EES14_IbLb1EEEEDaS10_S11_EUlS10_E_NS1_11comp_targetILNS1_3genE2ELNS1_11target_archE906ELNS1_3gpuE6ELNS1_3repE0EEENS1_30default_config_static_selectorELNS0_4arch9wavefront6targetE1EEEvT1_.kd
    .uniform_work_group_size: 1
    .uses_dynamic_stack: false
    .vgpr_count:     82
    .vgpr_spill_count: 0
    .wavefront_size: 64
  - .args:
      - .offset:         0
        .size:           120
        .value_kind:     by_value
    .group_segment_fixed_size: 0
    .kernarg_segment_align: 8
    .kernarg_segment_size: 120
    .language:       OpenCL C
    .language_version:
      - 2
      - 0
    .max_flat_workgroup_size: 256
    .name:           _ZN7rocprim17ROCPRIM_400000_NS6detail17trampoline_kernelINS0_14default_configENS1_27scan_by_key_config_selectorImiEEZZNS1_16scan_by_key_implILNS1_25lookback_scan_determinismE0ELb0ES3_N6thrust23THRUST_200600_302600_NS18transform_iteratorI9row_indexNS9_17counting_iteratorImNS9_11use_defaultESD_SD_EESD_SD_EENS9_6detail15normal_iteratorINS9_10device_ptrIiEEEESK_iNS9_4plusIvEENS9_8equal_toIvEEiEE10hipError_tPvRmT2_T3_T4_T5_mT6_T7_P12ihipStream_tbENKUlT_T0_E_clISt17integral_constantIbLb0EES14_IbLb1EEEEDaS10_S11_EUlS10_E_NS1_11comp_targetILNS1_3genE10ELNS1_11target_archE1200ELNS1_3gpuE4ELNS1_3repE0EEENS1_30default_config_static_selectorELNS0_4arch9wavefront6targetE1EEEvT1_
    .private_segment_fixed_size: 0
    .sgpr_count:     4
    .sgpr_spill_count: 0
    .symbol:         _ZN7rocprim17ROCPRIM_400000_NS6detail17trampoline_kernelINS0_14default_configENS1_27scan_by_key_config_selectorImiEEZZNS1_16scan_by_key_implILNS1_25lookback_scan_determinismE0ELb0ES3_N6thrust23THRUST_200600_302600_NS18transform_iteratorI9row_indexNS9_17counting_iteratorImNS9_11use_defaultESD_SD_EESD_SD_EENS9_6detail15normal_iteratorINS9_10device_ptrIiEEEESK_iNS9_4plusIvEENS9_8equal_toIvEEiEE10hipError_tPvRmT2_T3_T4_T5_mT6_T7_P12ihipStream_tbENKUlT_T0_E_clISt17integral_constantIbLb0EES14_IbLb1EEEEDaS10_S11_EUlS10_E_NS1_11comp_targetILNS1_3genE10ELNS1_11target_archE1200ELNS1_3gpuE4ELNS1_3repE0EEENS1_30default_config_static_selectorELNS0_4arch9wavefront6targetE1EEEvT1_.kd
    .uniform_work_group_size: 1
    .uses_dynamic_stack: false
    .vgpr_count:     0
    .vgpr_spill_count: 0
    .wavefront_size: 64
  - .args:
      - .offset:         0
        .size:           120
        .value_kind:     by_value
    .group_segment_fixed_size: 0
    .kernarg_segment_align: 8
    .kernarg_segment_size: 120
    .language:       OpenCL C
    .language_version:
      - 2
      - 0
    .max_flat_workgroup_size: 256
    .name:           _ZN7rocprim17ROCPRIM_400000_NS6detail17trampoline_kernelINS0_14default_configENS1_27scan_by_key_config_selectorImiEEZZNS1_16scan_by_key_implILNS1_25lookback_scan_determinismE0ELb0ES3_N6thrust23THRUST_200600_302600_NS18transform_iteratorI9row_indexNS9_17counting_iteratorImNS9_11use_defaultESD_SD_EESD_SD_EENS9_6detail15normal_iteratorINS9_10device_ptrIiEEEESK_iNS9_4plusIvEENS9_8equal_toIvEEiEE10hipError_tPvRmT2_T3_T4_T5_mT6_T7_P12ihipStream_tbENKUlT_T0_E_clISt17integral_constantIbLb0EES14_IbLb1EEEEDaS10_S11_EUlS10_E_NS1_11comp_targetILNS1_3genE9ELNS1_11target_archE1100ELNS1_3gpuE3ELNS1_3repE0EEENS1_30default_config_static_selectorELNS0_4arch9wavefront6targetE1EEEvT1_
    .private_segment_fixed_size: 0
    .sgpr_count:     4
    .sgpr_spill_count: 0
    .symbol:         _ZN7rocprim17ROCPRIM_400000_NS6detail17trampoline_kernelINS0_14default_configENS1_27scan_by_key_config_selectorImiEEZZNS1_16scan_by_key_implILNS1_25lookback_scan_determinismE0ELb0ES3_N6thrust23THRUST_200600_302600_NS18transform_iteratorI9row_indexNS9_17counting_iteratorImNS9_11use_defaultESD_SD_EESD_SD_EENS9_6detail15normal_iteratorINS9_10device_ptrIiEEEESK_iNS9_4plusIvEENS9_8equal_toIvEEiEE10hipError_tPvRmT2_T3_T4_T5_mT6_T7_P12ihipStream_tbENKUlT_T0_E_clISt17integral_constantIbLb0EES14_IbLb1EEEEDaS10_S11_EUlS10_E_NS1_11comp_targetILNS1_3genE9ELNS1_11target_archE1100ELNS1_3gpuE3ELNS1_3repE0EEENS1_30default_config_static_selectorELNS0_4arch9wavefront6targetE1EEEvT1_.kd
    .uniform_work_group_size: 1
    .uses_dynamic_stack: false
    .vgpr_count:     0
    .vgpr_spill_count: 0
    .wavefront_size: 64
  - .args:
      - .offset:         0
        .size:           120
        .value_kind:     by_value
    .group_segment_fixed_size: 0
    .kernarg_segment_align: 8
    .kernarg_segment_size: 120
    .language:       OpenCL C
    .language_version:
      - 2
      - 0
    .max_flat_workgroup_size: 256
    .name:           _ZN7rocprim17ROCPRIM_400000_NS6detail17trampoline_kernelINS0_14default_configENS1_27scan_by_key_config_selectorImiEEZZNS1_16scan_by_key_implILNS1_25lookback_scan_determinismE0ELb0ES3_N6thrust23THRUST_200600_302600_NS18transform_iteratorI9row_indexNS9_17counting_iteratorImNS9_11use_defaultESD_SD_EESD_SD_EENS9_6detail15normal_iteratorINS9_10device_ptrIiEEEESK_iNS9_4plusIvEENS9_8equal_toIvEEiEE10hipError_tPvRmT2_T3_T4_T5_mT6_T7_P12ihipStream_tbENKUlT_T0_E_clISt17integral_constantIbLb0EES14_IbLb1EEEEDaS10_S11_EUlS10_E_NS1_11comp_targetILNS1_3genE8ELNS1_11target_archE1030ELNS1_3gpuE2ELNS1_3repE0EEENS1_30default_config_static_selectorELNS0_4arch9wavefront6targetE1EEEvT1_
    .private_segment_fixed_size: 0
    .sgpr_count:     4
    .sgpr_spill_count: 0
    .symbol:         _ZN7rocprim17ROCPRIM_400000_NS6detail17trampoline_kernelINS0_14default_configENS1_27scan_by_key_config_selectorImiEEZZNS1_16scan_by_key_implILNS1_25lookback_scan_determinismE0ELb0ES3_N6thrust23THRUST_200600_302600_NS18transform_iteratorI9row_indexNS9_17counting_iteratorImNS9_11use_defaultESD_SD_EESD_SD_EENS9_6detail15normal_iteratorINS9_10device_ptrIiEEEESK_iNS9_4plusIvEENS9_8equal_toIvEEiEE10hipError_tPvRmT2_T3_T4_T5_mT6_T7_P12ihipStream_tbENKUlT_T0_E_clISt17integral_constantIbLb0EES14_IbLb1EEEEDaS10_S11_EUlS10_E_NS1_11comp_targetILNS1_3genE8ELNS1_11target_archE1030ELNS1_3gpuE2ELNS1_3repE0EEENS1_30default_config_static_selectorELNS0_4arch9wavefront6targetE1EEEvT1_.kd
    .uniform_work_group_size: 1
    .uses_dynamic_stack: false
    .vgpr_count:     0
    .vgpr_spill_count: 0
    .wavefront_size: 64
  - .args:
      - .offset:         0
        .size:           48
        .value_kind:     by_value
      - .offset:         48
        .size:           8
        .value_kind:     by_value
      - .offset:         56
        .size:           8
        .value_kind:     by_value
    .group_segment_fixed_size: 0
    .kernarg_segment_align: 8
    .kernarg_segment_size: 64
    .language:       OpenCL C
    .language_version:
      - 2
      - 0
    .max_flat_workgroup_size: 256
    .name:           _ZN6thrust23THRUST_200600_302600_NS11hip_rocprim14__parallel_for6kernelILj256ENS1_11__transform17unary_transform_fINS0_20permutation_iteratorINS0_6detail15normal_iteratorINS0_10device_ptrIiEEEENS0_18transform_iteratorI15transpose_indexNS0_17counting_iteratorImNS0_11use_defaultESF_SF_EESF_SF_EEEESB_NS4_14no_stencil_tagENS1_8identityENS4_21always_true_predicateEEExLj1EEEvT0_T1_SO_
    .private_segment_fixed_size: 0
    .sgpr_count:     30
    .sgpr_spill_count: 0
    .symbol:         _ZN6thrust23THRUST_200600_302600_NS11hip_rocprim14__parallel_for6kernelILj256ENS1_11__transform17unary_transform_fINS0_20permutation_iteratorINS0_6detail15normal_iteratorINS0_10device_ptrIiEEEENS0_18transform_iteratorI15transpose_indexNS0_17counting_iteratorImNS0_11use_defaultESF_SF_EESF_SF_EEEESB_NS4_14no_stencil_tagENS1_8identityENS4_21always_true_predicateEEExLj1EEEvT0_T1_SO_.kd
    .uniform_work_group_size: 1
    .uses_dynamic_stack: false
    .vgpr_count:     14
    .vgpr_spill_count: 0
    .wavefront_size: 64
amdhsa.target:   amdgcn-amd-amdhsa--gfx906
amdhsa.version:
  - 1
  - 2
...

	.end_amdgpu_metadata
